;; amdgpu-corpus repo=ROCm/rocFFT kind=compiled arch=gfx1030 opt=O3
	.text
	.amdgcn_target "amdgcn-amd-amdhsa--gfx1030"
	.amdhsa_code_object_version 6
	.protected	bluestein_single_back_len1386_dim1_half_op_CI_CI ; -- Begin function bluestein_single_back_len1386_dim1_half_op_CI_CI
	.globl	bluestein_single_back_len1386_dim1_half_op_CI_CI
	.p2align	8
	.type	bluestein_single_back_len1386_dim1_half_op_CI_CI,@function
bluestein_single_back_len1386_dim1_half_op_CI_CI: ; @bluestein_single_back_len1386_dim1_half_op_CI_CI
; %bb.0:
	s_load_dwordx4 s[16:19], s[4:5], 0x28
	v_mul_u32_u24_e32 v1, 0x11c, v0
	v_mov_b32_e32 v13, 0
	s_mov_b32 s0, exec_lo
	v_lshrrev_b32_e32 v1, 16, v1
	v_add_nc_u32_e32 v12, s6, v1
	s_waitcnt lgkmcnt(0)
	v_cmpx_gt_u64_e64 s[16:17], v[12:13]
	s_cbranch_execz .LBB0_18
; %bb.1:
	s_clause 0x1
	s_load_dwordx4 s[0:3], s[4:5], 0x18
	s_load_dwordx4 s[12:15], s[4:5], 0x0
	v_mul_lo_u16 v1, 0xe7, v1
	s_load_dwordx2 s[4:5], s[4:5], 0x38
	v_sub_nc_u16 v10, v0, v1
	v_and_b32_e32 v39, 0xffff, v10
	v_lshlrev_b32_e32 v42, 2, v39
	v_lshlrev_b32_e32 v47, 3, v39
	s_waitcnt lgkmcnt(0)
	s_load_dwordx4 s[8:11], s[0:1], 0x0
	v_add_co_u32 v11, s7, s12, v42
	v_add_co_ci_u32_e64 v13, null, s13, 0, s7
	s_waitcnt lgkmcnt(0)
	v_mad_u64_u32 v[0:1], null, s10, v12, 0
	v_mad_u64_u32 v[2:3], null, s8, v39, 0
	s_mul_i32 s0, s9, 0xad4
	s_mul_hi_u32 s1, s8, 0xad4
	s_mul_i32 s6, s8, 0xad4
	s_add_i32 s1, s1, s0
	s_mul_i32 s0, s9, 0xfffff8c8
	v_mad_u64_u32 v[4:5], null, s11, v12, v[1:2]
	s_sub_i32 s0, s0, s8
	v_mad_u64_u32 v[5:6], null, s9, v39, v[3:4]
	v_mov_b32_e32 v1, v4
	v_lshlrev_b64 v[0:1], 2, v[0:1]
	v_mov_b32_e32 v3, v5
	v_add_co_u32 v0, vcc_lo, s18, v0
	v_lshlrev_b64 v[2:3], 2, v[2:3]
	v_add_co_ci_u32_e32 v1, vcc_lo, s19, v1, vcc_lo
	v_add_co_u32 v0, vcc_lo, v0, v2
	v_add_co_ci_u32_e32 v1, vcc_lo, v1, v3, vcc_lo
	v_add_co_u32 v2, vcc_lo, v0, s6
	v_add_co_ci_u32_e32 v3, vcc_lo, s1, v1, vcc_lo
	global_load_dword v14, v[0:1], off
	v_mad_u64_u32 v[4:5], null, 0xfffff8c8, s8, v[2:3]
	v_add_nc_u32_e32 v5, s0, v5
	v_add_co_u32 v6, vcc_lo, v4, s6
	v_add_co_ci_u32_e32 v7, vcc_lo, s1, v5, vcc_lo
	v_add_co_u32 v8, vcc_lo, 0x800, v11
	v_add_co_ci_u32_e32 v9, vcc_lo, 0, v13, vcc_lo
	v_mad_u64_u32 v[0:1], null, 0xfffff8c8, s8, v[6:7]
	global_load_dword v41, v42, s[12:13]
	global_load_dword v15, v[2:3], off
	global_load_dword v40, v[8:9], off offset:724
	v_add_nc_u32_e32 v1, s0, v1
	global_load_dword v4, v[4:5], off
	s_clause 0x1
	global_load_dword v38, v42, s[12:13] offset:924
	global_load_dword v37, v[8:9], off offset:1648
	s_clause 0x1
	global_load_dword v5, v[6:7], off
	global_load_dword v6, v[0:1], off
	v_add_co_u32 v0, vcc_lo, v0, s6
	v_add_nc_u32_e32 v7, 0xe40, v42
	v_add_co_ci_u32_e32 v1, vcc_lo, s1, v1, vcc_lo
	v_add_co_u32 v2, vcc_lo, 0x1000, v11
	v_add_co_ci_u32_e32 v3, vcc_lo, 0, v13, vcc_lo
	global_load_dword v0, v[0:1], off
	s_clause 0x1
	global_load_dword v36, v42, s[12:13] offset:1848
	global_load_dword v35, v[2:3], off offset:524
	s_load_dwordx4 s[8:11], s[2:3], 0x0
	v_cmp_gt_u16_e32 vcc_lo, 0xc6, v10
	v_add_co_u32 v10, s0, 0xe7, v39
	v_lshlrev_b32_e32 v48, 3, v10
	s_waitcnt vmcnt(11)
	v_lshrrev_b32_e32 v1, 16, v14
	s_waitcnt vmcnt(10)
	v_mul_f16_sdwa v2, v41, v14 dst_sel:DWORD dst_unused:UNUSED_PAD src0_sel:WORD_1 src1_sel:DWORD
	v_mul_f16_sdwa v3, v41, v1 dst_sel:DWORD dst_unused:UNUSED_PAD src0_sel:WORD_1 src1_sel:DWORD
	s_waitcnt vmcnt(9)
	v_lshrrev_b32_e32 v8, 16, v15
	s_waitcnt vmcnt(8)
	v_mul_f16_sdwa v9, v40, v15 dst_sel:DWORD dst_unused:UNUSED_PAD src0_sel:WORD_1 src1_sel:DWORD
	v_fma_f16 v1, v41, v1, -v2
	v_fmac_f16_e32 v3, v41, v14
	s_waitcnt vmcnt(7)
	v_lshrrev_b32_e32 v2, 16, v4
	v_mul_f16_sdwa v11, v40, v8 dst_sel:DWORD dst_unused:UNUSED_PAD src0_sel:WORD_1 src1_sel:DWORD
	v_fma_f16 v8, v40, v8, -v9
	s_waitcnt vmcnt(6)
	v_mul_f16_sdwa v9, v38, v4 dst_sel:DWORD dst_unused:UNUSED_PAD src0_sel:WORD_1 src1_sel:DWORD
	v_pack_b32_f16 v1, v3, v1
	v_mul_f16_sdwa v3, v38, v2 dst_sel:DWORD dst_unused:UNUSED_PAD src0_sel:WORD_1 src1_sel:DWORD
	s_waitcnt vmcnt(4)
	v_lshrrev_b32_e32 v13, 16, v5
	v_fmac_f16_e32 v11, v40, v15
	v_fma_f16 v2, v38, v2, -v9
	v_mul_f16_sdwa v9, v37, v5 dst_sel:DWORD dst_unused:UNUSED_PAD src0_sel:WORD_1 src1_sel:DWORD
	v_fmac_f16_e32 v3, v38, v4
	s_waitcnt vmcnt(3)
	v_lshrrev_b32_e32 v4, 16, v6
	s_waitcnt vmcnt(2)
	v_lshrrev_b32_e32 v15, 16, v0
	v_mul_f16_sdwa v14, v37, v13 dst_sel:DWORD dst_unused:UNUSED_PAD src0_sel:WORD_1 src1_sel:DWORD
	v_fma_f16 v9, v37, v13, -v9
	s_waitcnt vmcnt(1)
	v_mul_f16_sdwa v13, v36, v6 dst_sel:DWORD dst_unused:UNUSED_PAD src0_sel:WORD_1 src1_sel:DWORD
	v_mul_f16_sdwa v16, v36, v4 dst_sel:DWORD dst_unused:UNUSED_PAD src0_sel:WORD_1 src1_sel:DWORD
	s_waitcnt vmcnt(0)
	v_mul_f16_sdwa v17, v35, v0 dst_sel:DWORD dst_unused:UNUSED_PAD src0_sel:WORD_1 src1_sel:DWORD
	v_mul_f16_sdwa v18, v35, v15 dst_sel:DWORD dst_unused:UNUSED_PAD src0_sel:WORD_1 src1_sel:DWORD
	v_fmac_f16_e32 v14, v37, v5
	v_fma_f16 v4, v36, v4, -v13
	v_fmac_f16_e32 v16, v36, v6
	v_fma_f16 v5, v35, v15, -v17
	v_fmac_f16_e32 v18, v35, v0
	v_pack_b32_f16 v0, v11, v8
	v_pack_b32_f16 v2, v3, v2
	v_add_nc_u32_e32 v6, 0x700, v42
	v_pack_b32_f16 v4, v16, v4
	v_pack_b32_f16 v3, v14, v9
	;; [unrolled: 1-line block ×3, first 2 shown]
	ds_write_b32 v42, v0 offset:2772
	ds_write2_b32 v42, v1, v2 offset1:231
	ds_write_b32 v42, v4 offset:1848
	ds_write2_b32 v7, v3, v5 offset0:12 offset1:243
	s_waitcnt lgkmcnt(0)
	s_barrier
	buffer_gl0_inv
	ds_read2_b32 v[0:1], v42 offset1:231
	ds_read2_b32 v[2:3], v6 offset0:14 offset1:245
	ds_read2_b32 v[6:7], v7 offset0:12 offset1:243
	v_add_co_ci_u32_e64 v4, null, 0, 0, s0
	s_waitcnt lgkmcnt(0)
	s_barrier
	buffer_gl0_inv
                                        ; implicit-def: $vgpr17
                                        ; implicit-def: $vgpr18
	v_pk_add_f16 v5, v0, v3 neg_lo:[0,1] neg_hi:[0,1]
	v_pk_add_f16 v9, v1, v6 neg_lo:[0,1] neg_hi:[0,1]
	;; [unrolled: 1-line block ×3, first 2 shown]
	v_pk_fma_f16 v4, v0, 2.0, v5 op_sel_hi:[1,0,1] neg_lo:[0,0,1] neg_hi:[0,0,1]
	v_pk_fma_f16 v8, v1, 2.0, v9 op_sel_hi:[1,0,1] neg_lo:[0,0,1] neg_hi:[0,0,1]
	;; [unrolled: 1-line block ×3, first 2 shown]
	v_lshrrev_b32_e32 v11, 16, v4
	v_lshrrev_b32_e32 v16, 16, v8
	;; [unrolled: 1-line block ×3, first 2 shown]
	ds_write_b64 v47, v[4:5]
	ds_write_b64 v48, v[8:9]
	ds_write_b64 v47, v[6:7] offset:3696
	s_waitcnt lgkmcnt(0)
	s_barrier
	buffer_gl0_inv
	s_and_saveexec_b32 s0, vcc_lo
	s_cbranch_execz .LBB0_3
; %bb.2:
	v_add_nc_u32_e32 v0, 0x600, v42
	v_add_nc_u32_e32 v1, 0xc00, v42
	ds_read2_b32 v[4:5], v42 offset1:198
	ds_read2_b32 v[8:9], v0 offset0:12 offset1:210
	ds_read2_b32 v[6:7], v1 offset0:24 offset1:222
	ds_read_b32 v17, v42 offset:4752
	s_waitcnt lgkmcnt(3)
	v_lshrrev_b32_e32 v11, 16, v4
	s_waitcnt lgkmcnt(2)
	v_lshrrev_b32_e32 v16, 16, v8
	;; [unrolled: 2-line block ×4, first 2 shown]
.LBB0_3:
	s_or_b32 exec_lo, exec_lo, s0
	v_and_b32_e32 v45, 1, v39
	v_lshrrev_b32_e32 v19, 16, v5
	v_lshrrev_b32_e32 v21, 16, v7
	;; [unrolled: 1-line block ×4, first 2 shown]
	v_mul_u32_u24_e32 v0, 6, v45
	v_lshlrev_b32_e32 v13, 2, v0
	s_clause 0x1
	global_load_dwordx4 v[0:3], v13, s[14:15]
	global_load_dwordx2 v[13:14], v13, s[14:15] offset:16
	s_waitcnt vmcnt(0)
	s_barrier
	buffer_gl0_inv
	v_mul_f16_sdwa v22, v19, v0 dst_sel:DWORD dst_unused:UNUSED_PAD src0_sel:DWORD src1_sel:WORD_1
	v_mul_f16_sdwa v23, v5, v0 dst_sel:DWORD dst_unused:UNUSED_PAD src0_sel:DWORD src1_sel:WORD_1
	;; [unrolled: 1-line block ×12, first 2 shown]
	v_fma_f16 v5, v5, v0, -v22
	v_fmac_f16_e32 v23, v19, v0
	v_fma_f16 v8, v8, v1, -v24
	v_fmac_f16_e32 v25, v16, v1
	v_fma_f16 v24, v6, v3, -v28
	v_fma_f16 v6, v17, v14, -v32
	v_fmac_f16_e32 v33, v18, v14
	v_fma_f16 v7, v7, v13, -v30
	v_fmac_f16_e32 v31, v21, v13
	;; [unrolled: 2-line block ×3, first 2 shown]
	v_fmac_f16_e32 v29, v15, v3
	v_add_f16_e32 v9, v5, v6
	v_add_f16_e32 v17, v23, v33
	;; [unrolled: 1-line block ×4, first 2 shown]
	v_sub_f16_e32 v19, v5, v6
	v_sub_f16_e32 v6, v23, v33
	;; [unrolled: 1-line block ×4, first 2 shown]
	v_add_f16_e32 v5, v22, v24
	v_add_f16_e32 v7, v27, v29
	v_sub_f16_e32 v8, v24, v22
	v_sub_f16_e32 v18, v29, v27
	v_add_f16_e32 v23, v16, v9
	v_add_f16_e32 v24, v20, v17
	v_sub_f16_e32 v26, v9, v5
	v_sub_f16_e32 v27, v17, v7
	;; [unrolled: 4-line block ×3, first 2 shown]
	v_sub_f16_e32 v8, v19, v8
	v_sub_f16_e32 v18, v6, v18
	v_add_f16_e32 v23, v5, v23
	v_add_f16_e32 v43, v7, v24
	v_sub_f16_e32 v32, v5, v16
	v_sub_f16_e32 v33, v7, v20
	v_add_f16_e32 v34, v28, v19
	v_mul_f16_e32 v28, 0x3a52, v26
	v_mul_f16_e32 v30, 0x3a52, v27
	;; [unrolled: 1-line block ×4, first 2 shown]
	v_add_f16_e32 v4, v4, v23
	v_add_f16_e32 v5, v11, v43
	;; [unrolled: 1-line block ×3, first 2 shown]
	v_fmamk_f16 v11, v32, 0x2b26, v28
	v_fmamk_f16 v18, v33, 0x2b26, v30
	;; [unrolled: 1-line block ×6, first 2 shown]
	v_fmac_f16_e32 v7, 0x370e, v34
	v_fmac_f16_e32 v8, 0x370e, v29
	v_add_f16_e32 v11, v11, v24
	v_add_f16_e32 v18, v18, v26
	v_sub_f16_e32 v23, v11, v8
	v_add_f16_e32 v51, v7, v18
	s_and_saveexec_b32 s0, vcc_lo
	s_cbranch_execz .LBB0_5
; %bb.4:
	v_mul_f16_e32 v32, 0x2b26, v32
	v_mul_f16_e32 v33, 0x2b26, v33
	v_sub_f16_e32 v19, v21, v19
	v_sub_f16_e32 v17, v20, v17
	;; [unrolled: 1-line block ×3, first 2 shown]
	v_mul_f16_e32 v20, 0xb846, v25
	v_sub_f16_e32 v6, v15, v6
	v_mul_f16_e32 v15, 0xb846, v22
	v_mul_f16_e32 v34, 0x370e, v34
	v_fma_f16 v21, v19, 0xbb00, -v31
	v_fma_f16 v25, v17, 0xb9e0, -v30
	;; [unrolled: 1-line block ×6, first 2 shown]
	v_mul_f16_e32 v16, 0x370e, v29
	v_fma_f16 v27, v6, 0xbb00, -v27
	v_fma_f16 v6, v6, 0x3b00, -v15
	v_add_f16_e32 v21, v34, v21
	v_add_f16_e32 v22, v25, v26
	;; [unrolled: 1-line block ×6, first 2 shown]
	v_mul_u32_u24_e32 v24, 14, v46
	v_add_f16_e32 v15, v16, v27
	v_add_f16_e32 v6, v16, v6
	;; [unrolled: 1-line block ×3, first 2 shown]
	v_sub_f16_e32 v26, v17, v19
	v_add_f16_e32 v17, v19, v17
	v_sub_f16_e32 v19, v22, v21
	v_or_b32_e32 v21, v24, v45
	v_sub_f16_e32 v7, v18, v7
	v_add_f16_e32 v8, v8, v11
	v_add_f16_e32 v27, v6, v9
	;; [unrolled: 1-line block ×3, first 2 shown]
	v_sub_f16_e32 v6, v9, v6
	v_sub_f16_e32 v20, v25, v15
	v_lshlrev_b32_e32 v9, 2, v21
	v_perm_b32 v4, v5, v4, 0x5040100
	v_pack_b32_f16 v5, v8, v7
	v_pack_b32_f16 v7, v11, v19
	;; [unrolled: 1-line block ×5, first 2 shown]
	v_perm_b32 v15, v51, v23, 0x5040100
	ds_write2_b32 v9, v4, v5 offset1:2
	ds_write2_b32 v9, v7, v6 offset0:4 offset1:6
	ds_write2_b32 v9, v8, v11 offset0:8 offset1:10
	ds_write_b32 v9, v15 offset:48
.LBB0_5:
	s_or_b32 exec_lo, exec_lo, s0
	v_lshrrev_b16 v4, 1, v39
	v_lshrrev_b16 v5, 1, v10
	v_mov_b32_e32 v6, 0x4925
	s_waitcnt lgkmcnt(0)
	s_barrier
	v_and_b32_e32 v4, 0x7f, v4
	buffer_gl0_inv
	v_mul_u32_u24_sdwa v5, v5, v6 dst_sel:DWORD dst_unused:UNUSED_PAD src0_sel:WORD_0 src1_sel:DWORD
	v_mov_b32_e32 v20, 42
	v_mov_b32_e32 v21, 2
	v_mul_lo_u16 v6, 0x93, v4
	v_lshlrev_b32_e32 v31, 1, v39
	v_lshrrev_b32_e32 v9, 17, v5
                                        ; implicit-def: $vgpr74
                                        ; implicit-def: $vgpr73
                                        ; implicit-def: $vgpr75
                                        ; implicit-def: $vgpr72
                                        ; implicit-def: $vgpr76
	v_lshrrev_b16 v11, 10, v6
	v_mul_lo_u16 v5, v9, 14
	v_mul_lo_u16 v6, v11, 14
	v_mul_u32_u24_sdwa v11, v11, v20 dst_sel:DWORD dst_unused:UNUSED_PAD src0_sel:WORD_0 src1_sel:DWORD
	v_sub_nc_u16 v10, v10, v5
	v_sub_nc_u16 v5, v39, v6
	v_lshlrev_b16 v6, 3, v10
	v_mad_u16 v9, v9, 42, v10
	v_and_b32_e32 v19, 0xff, v5
	v_and_b32_e32 v5, 0xffff, v6
	v_lshlrev_b32_sdwa v49, v21, v9 dst_sel:DWORD dst_unused:UNUSED_PAD src0_sel:DWORD src1_sel:WORD_0
	v_lshlrev_b32_e32 v7, 3, v19
	v_add_lshl_u32 v50, v11, v19, 2
	v_add_co_u32 v5, s0, s14, v5
	v_add_co_ci_u32_e64 v6, null, s15, 0, s0
	s_clause 0x1
	global_load_dwordx2 v[15:16], v7, s[14:15] offset:48
	global_load_dwordx2 v[17:18], v[5:6], off offset:48
	v_add_nc_u32_e32 v5, 0x700, v42
	v_add_nc_u32_e32 v7, 0xe40, v42
	ds_read2_b32 v[25:26], v42 offset1:231
	ds_read2_b32 v[5:6], v5 offset0:14 offset1:245
	ds_read2_b32 v[7:8], v7 offset0:12 offset1:243
	v_cmp_gt_u16_e64 s0, 0x7e, v39
	s_waitcnt vmcnt(0) lgkmcnt(0)
	s_barrier
	buffer_gl0_inv
	v_lshrrev_b32_e32 v53, 16, v25
	v_lshrrev_b32_e32 v52, 16, v26
	;; [unrolled: 1-line block ×6, first 2 shown]
	v_mul_f16_sdwa v9, v10, v15 dst_sel:DWORD dst_unused:UNUSED_PAD src0_sel:DWORD src1_sel:WORD_1
	v_mul_f16_sdwa v11, v5, v15 dst_sel:DWORD dst_unused:UNUSED_PAD src0_sel:DWORD src1_sel:WORD_1
	;; [unrolled: 1-line block ×8, first 2 shown]
	v_fma_f16 v5, v5, v15, -v9
	v_fmac_f16_e32 v11, v10, v15
	v_fma_f16 v7, v7, v16, -v19
	v_fmac_f16_e32 v28, v20, v16
	;; [unrolled: 2-line block ×4, first 2 shown]
	v_add_f16_e32 v10, v5, v7
	v_sub_f16_e32 v19, v11, v28
	v_add_f16_e32 v20, v53, v11
	v_add_f16_e32 v11, v11, v28
	;; [unrolled: 1-line block ×5, first 2 shown]
	v_sub_f16_e32 v5, v5, v7
	v_add_f16_e32 v22, v26, v6
	v_sub_f16_e32 v29, v27, v30
	v_add_f16_e32 v33, v52, v27
	v_fma_f16 v27, -0.5, v10, v25
	v_fmac_f16_e32 v53, -0.5, v11
	v_sub_f16_e32 v6, v6, v8
	v_fmac_f16_e32 v26, -0.5, v24
	v_fmac_f16_e32 v52, -0.5, v34
	v_add_f16_e32 v21, v9, v7
	v_add_f16_e32 v32, v20, v28
	;; [unrolled: 1-line block ×3, first 2 shown]
	v_fmamk_f16 v22, v19, 0x3aee, v27
	v_fmamk_f16 v55, v5, 0xbaee, v53
	v_fmac_f16_e32 v27, 0xbaee, v19
	v_fmac_f16_e32 v53, 0x3aee, v5
	v_add_f16_e32 v54, v33, v30
	v_fmamk_f16 v25, v29, 0x3aee, v26
	v_fmamk_f16 v64, v6, 0xbaee, v52
	v_fmac_f16_e32 v26, 0xbaee, v29
	v_fmac_f16_e32 v52, 0x3aee, v6
	v_pack_b32_f16 v5, v21, v32
	v_pack_b32_f16 v7, v22, v55
	;; [unrolled: 1-line block ×6, first 2 shown]
	ds_write2_b32 v50, v5, v7 offset1:14
	ds_write_b32 v50, v8 offset:112
	ds_write2_b32 v49, v6, v9 offset1:14
	ds_write_b32 v49, v10 offset:112
	s_waitcnt lgkmcnt(0)
	s_barrier
	buffer_gl0_inv
                                        ; implicit-def: $vgpr29
	s_and_saveexec_b32 s1, s0
	s_cbranch_execz .LBB0_7
; %bb.6:
	v_add_nc_u32_e32 v5, 0x200, v42
	v_add_nc_u32_e32 v6, 0x600, v42
	;; [unrolled: 1-line block ×3, first 2 shown]
	ds_read2_b32 v[21:22], v42 offset1:126
	ds_read2_b32 v[27:28], v5 offset0:124 offset1:250
	v_add_nc_u32_e32 v5, 0xe00, v42
	ds_read2_b32 v[25:26], v6 offset0:120 offset1:246
	ds_read2_b32 v[23:24], v7 offset0:116 offset1:242
	;; [unrolled: 1-line block ×3, first 2 shown]
	ds_read_b32 v72, v42 offset:5040
	s_waitcnt lgkmcnt(5)
	v_lshrrev_b32_e32 v32, 16, v21
	v_lshrrev_b32_e32 v55, 16, v22
	s_waitcnt lgkmcnt(4)
	v_lshrrev_b32_e32 v53, 16, v27
	v_lshrrev_b32_e32 v54, 16, v28
	;; [unrolled: 3-line block ×5, first 2 shown]
	s_waitcnt lgkmcnt(0)
	v_lshrrev_b32_e32 v76, 16, v72
.LBB0_7:
	s_or_b32 exec_lo, exec_lo, s1
	v_mul_lo_u16 v4, v4, 49
	v_lshrrev_b16 v44, 10, v4
	v_mul_lo_u16 v4, v44, 42
	v_sub_nc_u16 v4, v39, v4
	v_and_b32_e32 v43, 0xff, v4
	v_mad_u64_u32 v[19:20], null, v43, 40, s[14:15]
	s_clause 0x2
	global_load_dwordx4 v[8:11], v[19:20], off offset:160
	global_load_dwordx4 v[4:7], v[19:20], off offset:176
	global_load_dwordx2 v[19:20], v[19:20], off offset:192
	s_waitcnt vmcnt(0)
	s_barrier
	buffer_gl0_inv
	v_mul_f16_sdwa v65, v55, v8 dst_sel:DWORD dst_unused:UNUSED_PAD src0_sel:DWORD src1_sel:WORD_1
	v_mul_f16_sdwa v63, v22, v8 dst_sel:DWORD dst_unused:UNUSED_PAD src0_sel:DWORD src1_sel:WORD_1
	;; [unrolled: 1-line block ×11, first 2 shown]
	v_fma_f16 v71, v22, v8, -v65
	v_fmac_f16_e32 v63, v55, v8
	v_fma_f16 v22, v72, v20, -v82
	v_fmac_f16_e32 v34, v76, v20
	v_mul_f16_sdwa v67, v54, v10 dst_sel:DWORD dst_unused:UNUSED_PAD src0_sel:DWORD src1_sel:WORD_1
	v_mul_f16_sdwa v61, v28, v10 dst_sel:DWORD dst_unused:UNUSED_PAD src0_sel:DWORD src1_sel:WORD_1
	;; [unrolled: 1-line block ×9, first 2 shown]
	v_fma_f16 v70, v27, v9, -v66
	v_fmac_f16_e32 v62, v53, v9
	v_fma_f16 v68, v25, v11, -v68
	v_fmac_f16_e32 v59, v52, v4
	v_fma_f16 v66, v23, v5, -v78
	v_fma_f16 v23, v30, v19, -v81
	v_fmac_f16_e32 v33, v75, v19
	v_sub_f16_e32 v25, v63, v34
	v_sub_f16_e32 v52, v71, v22
	v_fma_f16 v69, v28, v10, -v67
	v_fmac_f16_e32 v61, v54, v10
	v_fmac_f16_e32 v60, v64, v11
	v_fma_f16 v67, v26, v4, -v77
	v_fma_f16 v65, v24, v6, -v79
	v_fmac_f16_e32 v57, v74, v6
	v_fma_f16 v24, v29, v7, -v80
	v_fmac_f16_e32 v56, v73, v7
	v_add_f16_e32 v29, v71, v22
	v_sub_f16_e32 v26, v62, v33
	v_add_f16_e32 v102, v63, v34
	v_sub_f16_e32 v53, v70, v23
	v_mul_f16_e32 v92, 0xbb47, v25
	v_mul_f16_e32 v100, 0xbbeb, v25
	;; [unrolled: 1-line block ×10, first 2 shown]
	v_fmac_f16_e32 v58, v51, v5
	v_add_f16_e32 v30, v70, v23
	v_sub_f16_e32 v27, v61, v56
	v_sub_f16_e32 v28, v60, v57
	v_add_f16_e32 v101, v62, v33
	v_sub_f16_e32 v54, v69, v24
	v_mul_f16_e32 v91, 0xba0c, v26
	v_mul_f16_e32 v98, 0x3482, v26
	;; [unrolled: 1-line block ×10, first 2 shown]
	v_fmamk_f16 v25, v29, 0x36a6, v92
	v_fmamk_f16 v26, v29, 0xb08e, v100
	;; [unrolled: 1-line block ×3, first 2 shown]
	v_fma_f16 v132, v102, 0x3abb, -v84
	v_fma_f16 v134, v102, 0x36a6, -v99
	;; [unrolled: 1-line block ×3, first 2 shown]
	v_fmamk_f16 v138, v29, 0xb93d, v111
	v_fma_f16 v140, v102, 0xb93d, -v120
	v_fmamk_f16 v142, v29, 0xbbad, v125
	v_fma_f16 v144, v102, 0xbbad, -v129
	v_add_f16_e32 v74, v69, v24
	v_sub_f16_e32 v51, v59, v58
	v_add_f16_e32 v113, v61, v56
	v_sub_f16_e32 v55, v68, v65
	v_mul_f16_e32 v89, 0x3482, v27
	v_mul_f16_e32 v94, 0x3b47, v27
	v_mul_f16_e32 v82, 0x3beb, v28
	v_mul_f16_e32 v93, 0xb853, v28
	v_mul_f16_e32 v81, 0xbbeb, v27
	v_mul_f16_e32 v85, 0xbbeb, v54
	v_mul_f16_e32 v96, 0x3482, v54
	v_mul_f16_e32 v108, 0x3b47, v54
	v_mul_f16_e32 v110, 0xb853, v27
	v_mul_f16_e32 v119, 0xb853, v54
	v_mul_f16_e32 v121, 0xba0c, v27
	v_mul_f16_e32 v126, 0xba0c, v54
	v_mul_f16_e32 v83, 0xba0c, v28
	v_mul_f16_e32 v109, 0xb482, v28
	v_mul_f16_e32 v122, 0x3b47, v28
	v_fmamk_f16 v27, v30, 0xb93d, v91
	v_fmamk_f16 v28, v30, 0xbbad, v98
	;; [unrolled: 1-line block ×3, first 2 shown]
	v_fma_f16 v133, v101, 0x36a6, -v78
	v_fma_f16 v135, v101, 0xb93d, -v95
	;; [unrolled: 1-line block ×3, first 2 shown]
	v_fmamk_f16 v139, v30, 0xb08e, v106
	v_fma_f16 v141, v101, 0xb08e, -v117
	v_fmamk_f16 v143, v30, 0x3abb, v123
	v_fma_f16 v145, v101, 0x3abb, -v128
	v_add_f16_e32 v25, v21, v25
	v_add_f16_e32 v26, v21, v26
	;; [unrolled: 1-line block ×12, first 2 shown]
	v_sub_f16_e32 v64, v67, v66
	v_mul_f16_e32 v73, 0x3853, v51
	v_mul_f16_e32 v88, 0xba0c, v51
	;; [unrolled: 1-line block ×10, first 2 shown]
	v_fmamk_f16 v51, v74, 0xbbad, v89
	v_fmamk_f16 v52, v74, 0x36a6, v94
	;; [unrolled: 1-line block ×3, first 2 shown]
	v_fma_f16 v147, v113, 0xb08e, -v85
	v_fma_f16 v148, v113, 0xbbad, -v96
	;; [unrolled: 1-line block ×3, first 2 shown]
	v_fmamk_f16 v150, v74, 0x3abb, v110
	v_fma_f16 v151, v113, 0x3abb, -v119
	v_fmamk_f16 v152, v74, 0xb93d, v121
	v_fma_f16 v153, v113, 0xb93d, -v126
	v_add_f16_e32 v25, v27, v25
	v_add_f16_e32 v26, v28, v26
	v_add_f16_e32 v27, v131, v72
	v_add_f16_e32 v28, v133, v132
	v_add_f16_e32 v72, v135, v134
	v_add_f16_e32 v131, v137, v136
	v_add_f16_e32 v132, v139, v138
	v_add_f16_e32 v133, v141, v140
	v_add_f16_e32 v134, v143, v142
	v_add_f16_e32 v135, v145, v144
	v_add_f16_e32 v75, v67, v66
	v_add_f16_e32 v116, v59, v58
	v_mul_f16_e32 v87, 0xb482, v64
	v_mul_f16_e32 v90, 0x3853, v64
	;; [unrolled: 1-line block ×5, first 2 shown]
	v_fmamk_f16 v53, v76, 0xb08e, v82
	v_fmamk_f16 v54, v76, 0x3abb, v93
	;; [unrolled: 1-line block ×3, first 2 shown]
	v_fma_f16 v155, v114, 0xb93d, -v86
	v_fma_f16 v156, v114, 0xb08e, -v97
	v_fma_f16 v157, v114, 0x3abb, -v105
	v_fmamk_f16 v158, v76, 0xbbad, v109
	v_fma_f16 v159, v114, 0xbbad, -v115
	v_fmamk_f16 v160, v76, 0x36a6, v122
	v_fma_f16 v161, v114, 0x36a6, -v127
	v_add_f16_e32 v25, v51, v25
	v_add_f16_e32 v26, v52, v26
	;; [unrolled: 1-line block ×10, first 2 shown]
	v_fmamk_f16 v55, v75, 0x3abb, v73
	v_fmamk_f16 v64, v75, 0xb93d, v88
	;; [unrolled: 1-line block ×3, first 2 shown]
	v_fma_f16 v163, v116, 0xbbad, -v87
	v_fma_f16 v164, v116, 0x3abb, -v90
	;; [unrolled: 1-line block ×4, first 2 shown]
	v_fmamk_f16 v167, v75, 0xb08e, v124
	v_fma_f16 v168, v116, 0xb08e, -v130
	v_fmamk_f16 v169, v75, 0x36a6, v112
	v_add_f16_e32 v25, v53, v25
	v_add_f16_e32 v26, v54, v26
	;; [unrolled: 1-line block ×20, first 2 shown]
	v_add_nc_u32_e32 v72, 0xe70, v47
	s_and_saveexec_b32 s1, s0
	s_cbranch_execz .LBB0_9
; %bb.8:
	v_mul_f16_e32 v132, 0x3abb, v102
	v_mul_f16_e32 v134, 0x36a6, v102
	;; [unrolled: 1-line block ×15, first 2 shown]
	v_add_f16_e32 v102, v129, v102
	v_mul_f16_e32 v139, 0x36a6, v30
	v_mul_f16_e32 v141, 0xb93d, v30
	;; [unrolled: 1-line block ×10, first 2 shown]
	v_add_f16_e32 v102, v32, v102
	v_add_f16_e32 v101, v128, v101
	v_sub_f16_e32 v29, v29, v125
	v_sub_f16_e32 v92, v133, v92
	v_mul_f16_e32 v147, 0xb08e, v74
	v_mul_f16_e32 v149, 0xbbad, v74
	v_mul_f16_e32 v151, 0x36a6, v74
	v_mul_f16_e32 v153, 0x3abb, v74
	v_mul_f16_e32 v74, 0xb93d, v74
	v_mul_f16_e32 v156, 0xb93d, v114
	v_mul_f16_e32 v158, 0xb08e, v114
	v_mul_f16_e32 v160, 0x3abb, v114
	v_mul_f16_e32 v162, 0xbbad, v114
	v_mul_f16_e32 v114, 0x36a6, v114
	v_add_f16_e32 v101, v101, v102
	v_add_f16_e32 v102, v126, v113
	;; [unrolled: 1-line block ×3, first 2 shown]
	v_sub_f16_e32 v30, v30, v123
	v_add_f16_e32 v92, v21, v92
	v_sub_f16_e32 v91, v141, v91
	v_add_f16_e32 v71, v21, v71
	v_add_f16_e32 v63, v32, v63
	v_mul_f16_e32 v155, 0xb93d, v76
	v_mul_f16_e32 v157, 0xb08e, v76
	;; [unrolled: 1-line block ×9, first 2 shown]
	v_add_f16_e32 v101, v102, v101
	v_add_f16_e32 v102, v127, v114
	v_mul_f16_e32 v114, 0xb08e, v116
	v_add_f16_e32 v116, v120, v138
	v_add_f16_e32 v29, v30, v29
	v_sub_f16_e32 v30, v74, v121
	v_add_f16_e32 v91, v91, v92
	v_sub_f16_e32 v89, v149, v89
	v_add_f16_e32 v70, v71, v70
	v_add_f16_e32 v62, v63, v62
	;; [unrolled: 1-line block ×7, first 2 shown]
	v_sub_f16_e32 v30, v76, v122
	v_add_f16_e32 v71, v89, v91
	v_sub_f16_e32 v63, v157, v82
	v_add_f16_e32 v69, v70, v69
	v_add_f16_e32 v61, v62, v61
	;; [unrolled: 1-line block ×4, first 2 shown]
	v_sub_f16_e32 v30, v137, v111
	v_add_f16_e32 v102, v107, v136
	v_sub_f16_e32 v100, v135, v100
	v_add_f16_e32 v99, v99, v134
	v_add_f16_e32 v70, v84, v132
	;; [unrolled: 1-line block ×3, first 2 shown]
	v_sub_f16_e32 v63, v131, v79
	v_add_f16_e32 v68, v69, v68
	v_add_f16_e32 v60, v61, v60
	;; [unrolled: 1-line block ×11, first 2 shown]
	v_sub_f16_e32 v98, v143, v98
	v_sub_f16_e32 v67, v139, v77
	v_add_f16_e32 v32, v61, v32
	v_add_f16_e32 v60, v85, v148
	;; [unrolled: 1-line block ×8, first 2 shown]
	v_sub_f16_e32 v94, v151, v94
	v_add_f16_e32 v95, v95, v142
	v_add_f16_e32 v21, v67, v21
	v_sub_f16_e32 v59, v147, v81
	v_add_f16_e32 v32, v60, v32
	v_add_f16_e32 v60, v61, v65
	;; [unrolled: 1-line block ×5, first 2 shown]
	v_sub_f16_e32 v106, v145, v106
	v_mul_f16_e32 v129, 0xbbad, v75
	v_add_f16_e32 v102, v104, v102
	v_add_f16_e32 v104, v108, v152
	;; [unrolled: 1-line block ×3, first 2 shown]
	v_sub_f16_e32 v93, v159, v93
	v_add_f16_e32 v95, v95, v99
	v_add_f16_e32 v96, v96, v150
	;; [unrolled: 1-line block ×4, first 2 shown]
	v_sub_f16_e32 v58, v155, v83
	v_add_f16_e32 v24, v60, v24
	v_add_f16_e32 v56, v57, v56
	;; [unrolled: 1-line block ×5, first 2 shown]
	v_sub_f16_e32 v106, v153, v110
	v_mul_f16_e32 v164, 0x3abb, v75
	v_mul_f16_e32 v165, 0xb93d, v75
	v_add_f16_e32 v102, v104, v102
	v_add_f16_e32 v104, v105, v160
	;; [unrolled: 1-line block ×9, first 2 shown]
	v_mov_b32_e32 v24, 0x1ce
	v_add_f16_e32 v33, v56, v33
	v_sub_f16_e32 v56, v129, v80
	v_mul_f16_e32 v113, 0x36a6, v75
	v_mul_f16_e32 v75, 0xb08e, v75
	v_add_f16_e32 v76, v101, v76
	v_add_f16_e32 v30, v106, v30
	v_sub_f16_e32 v101, v161, v109
	v_add_f16_e32 v102, v104, v102
	v_add_f16_e32 v100, v103, v166
	v_sub_f16_e32 v88, v165, v88
	v_add_f16_e32 v92, v95, v94
	v_add_f16_e32 v82, v90, v128
	;; [unrolled: 1-line block ×4, first 2 shown]
	v_mul_u32_u24_sdwa v23, v44, v24 dst_sel:DWORD dst_unused:UNUSED_PAD src0_sel:WORD_0 src1_sel:DWORD
	v_add_f16_e32 v24, v33, v34
	v_add_f16_e32 v21, v56, v21
	v_sub_f16_e32 v33, v164, v73
	v_sub_f16_e32 v75, v75, v124
	v_add_f16_e32 v30, v101, v30
	v_sub_f16_e32 v101, v113, v112
	v_add_f16_e32 v98, v100, v102
	v_add_f16_e32 v34, v82, v92
	v_add_lshl_u32 v23, v23, v43, 2
	v_pack_b32_f16 v22, v22, v24
	v_pack_b32_f16 v21, v21, v32
	v_add_f16_e32 v24, v33, v62
	v_add_f16_e32 v32, v88, v93
	;; [unrolled: 1-line block ×4, first 2 shown]
	ds_write2_b32 v23, v22, v21 offset1:42
	v_pack_b32_f16 v21, v24, v34
	v_pack_b32_f16 v22, v32, v98
	;; [unrolled: 1-line block ×4, first 2 shown]
	v_perm_b32 v30, v64, v25, 0x5040100
	v_perm_b32 v32, v51, v26, 0x5040100
	v_add_nc_u32_e32 v33, 0x200, v23
	v_perm_b32 v34, v52, v27, 0x5040100
	v_perm_b32 v56, v54, v28, 0x5040100
	v_add_nc_u32_e32 v57, 0x400, v23
	v_perm_b32 v58, v55, v53, 0x5040100
	ds_write2_b32 v23, v21, v22 offset0:84 offset1:126
	ds_write2_b32 v23, v24, v29 offset0:168 offset1:210
	;; [unrolled: 1-line block ×4, first 2 shown]
	ds_write_b32 v23, v58 offset:1680
.LBB0_9:
	s_or_b32 exec_lo, exec_lo, s1
	v_lshlrev_b32_e32 v21, 2, v31
	s_waitcnt lgkmcnt(0)
	s_barrier
	buffer_gl0_inv
	v_add_nc_u32_e32 v58, 0x700, v42
	s_clause 0x1
	global_load_dwordx2 v[21:22], v21, s[14:15] offset:1840
	global_load_dwordx2 v[23:24], v48, s[14:15] offset:1840
	v_add_nc_u32_e32 v59, 0xe40, v42
	ds_read2_b32 v[29:30], v42 offset1:231
	ds_read2_b32 v[31:32], v58 offset0:14 offset1:245
	ds_read2_b32 v[33:34], v59 offset0:12 offset1:243
	v_lshlrev_b32_e32 v56, 2, v39
	v_add_co_u32 v60, s1, s12, v56
	v_add_co_ci_u32_e64 v61, null, s13, 0, s1
	v_add_co_u32 v56, s1, 0x1000, v60
	v_add_co_ci_u32_e64 v57, s1, 0, v61, s1
	s_waitcnt lgkmcnt(2)
	v_lshrrev_b32_e32 v65, 16, v30
	s_waitcnt lgkmcnt(1)
	v_lshrrev_b32_e32 v63, 16, v31
	;; [unrolled: 2-line block ×3, first 2 shown]
	v_lshrrev_b32_e32 v67, 16, v32
	v_lshrrev_b32_e32 v68, 16, v34
	;; [unrolled: 1-line block ×3, first 2 shown]
	s_waitcnt vmcnt(1)
	v_mul_f16_sdwa v69, v63, v21 dst_sel:DWORD dst_unused:UNUSED_PAD src0_sel:DWORD src1_sel:WORD_1
	v_mul_f16_sdwa v70, v31, v21 dst_sel:DWORD dst_unused:UNUSED_PAD src0_sel:DWORD src1_sel:WORD_1
	;; [unrolled: 1-line block ×4, first 2 shown]
	s_waitcnt vmcnt(0)
	v_mul_f16_sdwa v74, v67, v23 dst_sel:DWORD dst_unused:UNUSED_PAD src0_sel:DWORD src1_sel:WORD_1
	v_mul_f16_sdwa v75, v32, v23 dst_sel:DWORD dst_unused:UNUSED_PAD src0_sel:DWORD src1_sel:WORD_1
	v_mul_f16_sdwa v76, v68, v24 dst_sel:DWORD dst_unused:UNUSED_PAD src0_sel:DWORD src1_sel:WORD_1
	v_mul_f16_sdwa v77, v34, v24 dst_sel:DWORD dst_unused:UNUSED_PAD src0_sel:DWORD src1_sel:WORD_1
	v_fma_f16 v31, v31, v21, -v69
	v_fmac_f16_e32 v70, v63, v21
	v_fma_f16 v33, v33, v22, -v71
	v_fmac_f16_e32 v73, v66, v22
	;; [unrolled: 2-line block ×4, first 2 shown]
	v_add_f16_e32 v66, v31, v33
	v_add_f16_e32 v69, v70, v73
	;; [unrolled: 1-line block ×4, first 2 shown]
	v_sub_f16_e32 v74, v75, v77
	v_add_f16_e32 v75, v75, v77
	v_add_f16_e32 v63, v29, v31
	v_sub_f16_e32 v67, v70, v73
	v_add_f16_e32 v68, v62, v70
	v_sub_f16_e32 v31, v31, v33
	v_fma_f16 v29, -0.5, v66, v29
	v_fmac_f16_e32 v62, -0.5, v69
	v_add_f16_e32 v70, v30, v32
	v_sub_f16_e32 v32, v32, v34
	v_fmac_f16_e32 v30, -0.5, v71
	v_fmac_f16_e32 v65, -0.5, v75
	v_add_f16_e32 v33, v63, v33
	v_add_f16_e32 v63, v68, v73
	v_fmamk_f16 v68, v67, 0x3aee, v29
	v_fmac_f16_e32 v29, 0xbaee, v67
	v_fmamk_f16 v67, v31, 0xbaee, v62
	v_fmac_f16_e32 v62, 0x3aee, v31
	v_add_f16_e32 v34, v70, v34
	v_add_f16_e32 v66, v76, v77
	v_fmamk_f16 v31, v74, 0x3aee, v30
	v_fmamk_f16 v69, v32, 0xbaee, v65
	v_fmac_f16_e32 v30, 0xbaee, v74
	v_fmac_f16_e32 v65, 0x3aee, v32
	v_pack_b32_f16 v32, v33, v63
	v_pack_b32_f16 v33, v68, v67
	;; [unrolled: 1-line block ×6, first 2 shown]
	ds_write_b32 v42, v33 offset:1848
	ds_write_b32 v42, v29 offset:3696
	ds_write2_b32 v42, v32, v34 offset1:231
	ds_write_b32 v42, v31 offset:2772
	ds_write_b32 v42, v30 offset:4620
	s_waitcnt lgkmcnt(0)
	s_barrier
	buffer_gl0_inv
	global_load_dword v33, v[56:57], off offset:1448
	v_add_co_u32 v29, s1, 0x15a8, v60
	v_add_co_ci_u32_e64 v30, s1, 0, v61, s1
	v_add_co_u32 v31, s1, 0x2000, v60
	v_add_co_ci_u32_e64 v32, s1, 0, v61, s1
	s_clause 0x4
	global_load_dword v56, v[29:30], off offset:924
	global_load_dword v57, v[31:32], off offset:124
	;; [unrolled: 1-line block ×5, first 2 shown]
	ds_read2_b32 v[29:30], v42 offset1:231
	v_add_nc_u32_e32 v66, 0xa80, v42
	v_add_nc_u32_e32 v67, 0x380, v42
	s_waitcnt lgkmcnt(0)
	v_lshrrev_b32_e32 v31, 16, v29
	s_waitcnt vmcnt(5)
	v_mul_f16_sdwa v32, v31, v33 dst_sel:DWORD dst_unused:UNUSED_PAD src0_sel:DWORD src1_sel:WORD_1
	v_mul_f16_sdwa v34, v29, v33 dst_sel:DWORD dst_unused:UNUSED_PAD src0_sel:DWORD src1_sel:WORD_1
	v_fma_f16 v29, v29, v33, -v32
	v_fmac_f16_e32 v34, v31, v33
	s_waitcnt vmcnt(4)
	v_mul_f16_sdwa v65, v30, v56 dst_sel:DWORD dst_unused:UNUSED_PAD src0_sel:DWORD src1_sel:WORD_1
	v_pack_b32_f16 v29, v29, v34
	ds_write_b32 v42, v29
	ds_read2_b32 v[31:32], v58 offset0:14 offset1:245
	ds_read2_b32 v[33:34], v59 offset0:12 offset1:243
	v_lshrrev_b32_e32 v29, 16, v30
	v_mul_f16_sdwa v63, v29, v56 dst_sel:DWORD dst_unused:UNUSED_PAD src0_sel:DWORD src1_sel:WORD_1
	v_fmac_f16_e32 v65, v29, v56
	v_fma_f16 v30, v30, v56, -v63
	v_pack_b32_f16 v30, v30, v65
	s_waitcnt lgkmcnt(1)
	v_lshrrev_b32_e32 v29, 16, v32
	s_waitcnt vmcnt(3)
	v_mul_f16_sdwa v56, v32, v57 dst_sel:DWORD dst_unused:UNUSED_PAD src0_sel:DWORD src1_sel:WORD_1
	s_waitcnt lgkmcnt(0)
	v_lshrrev_b32_e32 v63, 16, v33
	s_waitcnt vmcnt(2)
	v_mul_f16_sdwa v68, v33, v60 dst_sel:DWORD dst_unused:UNUSED_PAD src0_sel:DWORD src1_sel:WORD_1
	v_lshrrev_b32_e32 v69, 16, v31
	s_waitcnt vmcnt(0)
	v_mul_f16_sdwa v70, v31, v62 dst_sel:DWORD dst_unused:UNUSED_PAD src0_sel:DWORD src1_sel:WORD_1
	v_lshrrev_b32_e32 v71, 16, v34
	v_mul_f16_sdwa v74, v29, v57 dst_sel:DWORD dst_unused:UNUSED_PAD src0_sel:DWORD src1_sel:WORD_1
	v_fmac_f16_e32 v56, v29, v57
	v_mul_f16_sdwa v29, v63, v60 dst_sel:DWORD dst_unused:UNUSED_PAD src0_sel:DWORD src1_sel:WORD_1
	v_fmac_f16_e32 v68, v63, v60
	v_mul_f16_sdwa v63, v69, v62 dst_sel:DWORD dst_unused:UNUSED_PAD src0_sel:DWORD src1_sel:WORD_1
	v_mul_f16_sdwa v73, v34, v61 dst_sel:DWORD dst_unused:UNUSED_PAD src0_sel:DWORD src1_sel:WORD_1
	v_fmac_f16_e32 v70, v69, v62
	v_mul_f16_sdwa v69, v71, v61 dst_sel:DWORD dst_unused:UNUSED_PAD src0_sel:DWORD src1_sel:WORD_1
	v_fma_f16 v32, v32, v57, -v74
	v_fma_f16 v29, v33, v60, -v29
	;; [unrolled: 1-line block ×3, first 2 shown]
	v_fmac_f16_e32 v73, v71, v61
	v_fma_f16 v33, v34, v61, -v69
	v_pack_b32_f16 v32, v32, v56
	v_pack_b32_f16 v29, v29, v68
	;; [unrolled: 1-line block ×4, first 2 shown]
	ds_write2_b32 v66, v32, v29 offset0:21 offset1:252
	ds_write2_b32 v67, v30, v31 offset0:7 offset1:238
	ds_write_b32 v42, v33 offset:4620
	s_waitcnt lgkmcnt(0)
	s_barrier
	buffer_gl0_inv
	ds_read2_b32 v[56:57], v42 offset1:231
	ds_read2_b32 v[31:32], v58 offset0:14 offset1:245
	ds_read2_b32 v[58:59], v59 offset0:12 offset1:243
	s_waitcnt lgkmcnt(0)
	s_barrier
	buffer_gl0_inv
	v_pk_add_f16 v30, v56, v32 neg_lo:[0,1] neg_hi:[0,1]
	v_pk_add_f16 v34, v57, v58 neg_lo:[0,1] neg_hi:[0,1]
	;; [unrolled: 1-line block ×3, first 2 shown]
	v_pk_fma_f16 v29, v56, 2.0, v30 op_sel_hi:[1,0,1] neg_lo:[0,0,1] neg_hi:[0,0,1]
	v_pk_fma_f16 v33, v57, 2.0, v34 op_sel_hi:[1,0,1] neg_lo:[0,0,1] neg_hi:[0,0,1]
	;; [unrolled: 1-line block ×3, first 2 shown]
	v_lshrrev_b32_e32 v56, 16, v29
	ds_write_b64 v47, v[29:30]
	v_lshrrev_b32_e32 v57, 16, v33
	v_lshrrev_b32_e32 v47, 16, v31
	ds_write_b64 v48, v[33:34]
	ds_write_b64 v72, v[31:32]
	s_waitcnt lgkmcnt(0)
	s_barrier
	buffer_gl0_inv
	s_and_saveexec_b32 s1, vcc_lo
	s_cbranch_execz .LBB0_11
; %bb.10:
	v_add_nc_u32_e32 v25, 0x600, v42
	v_add_nc_u32_e32 v31, 0xc00, v42
	ds_read2_b32 v[29:30], v42 offset1:198
	ds_read2_b32 v[33:34], v25 offset0:12 offset1:210
	ds_read2_b32 v[31:32], v31 offset0:24 offset1:222
	ds_read_b32 v25, v42 offset:4752
	s_waitcnt lgkmcnt(3)
	v_lshrrev_b32_e32 v56, 16, v29
	s_waitcnt lgkmcnt(2)
	v_lshrrev_b32_e32 v57, 16, v33
	;; [unrolled: 2-line block ×4, first 2 shown]
.LBB0_11:
	s_or_b32 exec_lo, exec_lo, s1
	v_lshrrev_b32_e32 v60, 16, v34
	v_lshrrev_b32_e32 v48, 16, v30
	v_mul_f16_sdwa v63, v2, v34 dst_sel:DWORD dst_unused:UNUSED_PAD src0_sel:WORD_1 src1_sel:DWORD
	v_mul_f16_sdwa v58, v0, v30 dst_sel:DWORD dst_unused:UNUSED_PAD src0_sel:WORD_1 src1_sel:DWORD
	;; [unrolled: 1-line block ×6, first 2 shown]
	v_fma_f16 v60, v2, v60, -v63
	v_fma_f16 v58, v0, v48, -v58
	v_fmac_f16_e32 v65, v2, v34
	v_lshrrev_b32_e32 v2, 16, v32
	v_fmac_f16_e32 v59, v1, v33
	v_fmac_f16_e32 v62, v0, v30
	v_mul_f16_sdwa v0, v3, v47 dst_sel:DWORD dst_unused:UNUSED_PAD src0_sel:WORD_1 src1_sel:DWORD
	v_fma_f16 v1, v1, v57, -v61
	v_mul_f16_sdwa v33, v14, v64 dst_sel:DWORD dst_unused:UNUSED_PAD src0_sel:WORD_1 src1_sel:DWORD
	v_mul_f16_sdwa v30, v14, v25 dst_sel:DWORD dst_unused:UNUSED_PAD src0_sel:WORD_1 src1_sel:DWORD
	;; [unrolled: 1-line block ×4, first 2 shown]
	v_fmac_f16_e32 v0, v3, v31
	v_mul_f16_sdwa v31, v3, v31 dst_sel:DWORD dst_unused:UNUSED_PAD src0_sel:WORD_1 src1_sel:DWORD
	v_fmac_f16_e32 v33, v14, v25
	v_fma_f16 v14, v14, v64, -v30
	v_fmac_f16_e32 v61, v13, v32
	v_fma_f16 v13, v13, v2, -v34
	v_fma_f16 v3, v3, v47, -v31
	v_add_f16_e32 v30, v33, v62
	v_add_f16_e32 v34, v14, v58
	v_sub_f16_e32 v48, v62, v33
	v_add_f16_e32 v33, v61, v59
	v_add_f16_e32 v57, v13, v1
	v_sub_f16_e32 v2, v58, v14
	v_sub_f16_e32 v58, v59, v61
	;; [unrolled: 1-line block ×3, first 2 shown]
	v_add_f16_e32 v1, v0, v65
	v_add_f16_e32 v13, v3, v60
	v_sub_f16_e32 v0, v0, v65
	v_sub_f16_e32 v3, v3, v60
	v_add_f16_e32 v14, v33, v30
	v_add_f16_e32 v25, v57, v34
	v_sub_f16_e32 v32, v30, v1
	v_sub_f16_e32 v47, v34, v13
	;; [unrolled: 1-line block ×3, first 2 shown]
	v_add_f16_e32 v61, v0, v58
	v_add_f16_e32 v62, v3, v31
	v_sub_f16_e32 v59, v3, v31
	v_sub_f16_e32 v67, v48, v0
	v_add_f16_e32 v14, v1, v14
	v_add_f16_e32 v13, v13, v25
	v_sub_f16_e32 v3, v2, v3
	v_sub_f16_e32 v65, v1, v33
	;; [unrolled: 1-line block ×3, first 2 shown]
	v_add_f16_e32 v68, v61, v48
	v_add_f16_e32 v63, v62, v2
	;; [unrolled: 1-line block ×4, first 2 shown]
	v_mul_f16_e32 v62, 0x3a52, v32
	v_mul_f16_e32 v64, 0x3a52, v47
	;; [unrolled: 1-line block ×4, first 2 shown]
	v_fmamk_f16 v47, v14, 0xbcab, v0
	v_fmamk_f16 v56, v13, 0xbcab, v1
	;; [unrolled: 1-line block ×6, first 2 shown]
	v_add_f16_e32 v13, v13, v47
	v_add_f16_e32 v32, v25, v56
	v_fmac_f16_e32 v3, 0xb70e, v63
	v_fmac_f16_e32 v14, 0xb70e, v68
	s_barrier
	buffer_gl0_inv
	v_sub_f16_e32 v25, v13, v3
	v_add_f16_e32 v29, v14, v32
	s_and_saveexec_b32 s1, vcc_lo
	s_cbranch_execz .LBB0_13
; %bb.12:
	v_mul_f16_e32 v65, 0x2b26, v65
	v_mul_f16_e32 v66, 0x2b26, v66
	v_sub_f16_e32 v48, v58, v48
	v_sub_f16_e32 v34, v57, v34
	;; [unrolled: 1-line block ×3, first 2 shown]
	v_mul_f16_e32 v57, 0x3846, v60
	v_sub_f16_e32 v2, v31, v2
	v_mul_f16_e32 v31, 0x3846, v59
	v_mul_f16_e32 v68, 0xb70e, v68
	;; [unrolled: 1-line block ×3, first 2 shown]
	v_fma_f16 v58, v48, 0x3b00, -v67
	v_fma_f16 v60, v34, 0xb9e0, -v64
	;; [unrolled: 1-line block ×8, first 2 shown]
	v_mul_u32_u24_e32 v46, 14, v46
	v_add_f16_e32 v58, v68, v58
	v_add_f16_e32 v59, v60, v56
	;; [unrolled: 1-line block ×8, first 2 shown]
	v_or_b32_e32 v45, v46, v45
	v_sub_f16_e32 v14, v32, v14
	v_add_f16_e32 v3, v3, v13
	v_sub_f16_e32 v56, v34, v48
	v_add_f16_e32 v57, v2, v30
	v_add_f16_e32 v34, v48, v34
	v_sub_f16_e32 v48, v59, v58
	v_add_f16_e32 v13, v31, v60
	v_sub_f16_e32 v2, v30, v2
	;; [unrolled: 2-line block ×3, first 2 shown]
	v_lshlrev_b32_e32 v30, 2, v45
	v_perm_b32 v0, v1, v0, 0x5040100
	v_pack_b32_f16 v1, v3, v14
	v_pack_b32_f16 v3, v13, v48
	;; [unrolled: 1-line block ×5, first 2 shown]
	v_perm_b32 v31, v29, v25, 0x5040100
	ds_write2_b32 v30, v0, v1 offset1:2
	ds_write2_b32 v30, v3, v2 offset0:4 offset1:6
	ds_write2_b32 v30, v13, v14 offset0:8 offset1:10
	ds_write_b32 v30, v31 offset:48
.LBB0_13:
	s_or_b32 exec_lo, exec_lo, s1
	v_add_nc_u32_e32 v0, 0x700, v42
	v_add_nc_u32_e32 v13, 0xe40, v42
	s_waitcnt lgkmcnt(0)
	s_barrier
	buffer_gl0_inv
	ds_read2_b32 v[2:3], v42 offset1:231
	ds_read2_b32 v[0:1], v0 offset0:14 offset1:245
	ds_read2_b32 v[13:14], v13 offset0:12 offset1:243
	s_waitcnt lgkmcnt(0)
	s_barrier
	buffer_gl0_inv
	v_lshrrev_b32_e32 v31, 16, v2
	v_lshrrev_b32_e32 v32, 16, v0
	;; [unrolled: 1-line block ×3, first 2 shown]
	v_mul_f16_sdwa v46, v15, v0 dst_sel:DWORD dst_unused:UNUSED_PAD src0_sel:WORD_1 src1_sel:DWORD
	v_lshrrev_b32_e32 v34, 16, v1
	v_lshrrev_b32_e32 v45, 16, v14
	v_mul_f16_sdwa v47, v16, v13 dst_sel:DWORD dst_unused:UNUSED_PAD src0_sel:WORD_1 src1_sel:DWORD
	v_mul_f16_sdwa v48, v17, v1 dst_sel:DWORD dst_unused:UNUSED_PAD src0_sel:WORD_1 src1_sel:DWORD
	;; [unrolled: 1-line block ×4, first 2 shown]
	v_fma_f16 v32, v15, v32, -v46
	v_mul_f16_sdwa v46, v16, v33 dst_sel:DWORD dst_unused:UNUSED_PAD src0_sel:WORD_1 src1_sel:DWORD
	v_fma_f16 v33, v16, v33, -v47
	v_mul_f16_sdwa v47, v17, v34 dst_sel:DWORD dst_unused:UNUSED_PAD src0_sel:WORD_1 src1_sel:DWORD
	;; [unrolled: 2-line block ×3, first 2 shown]
	v_fma_f16 v45, v18, v45, -v56
	v_fmac_f16_e32 v57, v15, v0
	v_fmac_f16_e32 v46, v16, v13
	v_lshrrev_b32_e32 v30, 16, v3
	v_fmac_f16_e32 v47, v17, v1
	v_fmac_f16_e32 v48, v18, v14
	v_sub_f16_e32 v14, v32, v33
	v_add_f16_e32 v0, v31, v32
	v_add_f16_e32 v1, v32, v33
	;; [unrolled: 1-line block ×4, first 2 shown]
	v_sub_f16_e32 v16, v34, v45
	v_add_f16_e32 v17, v30, v34
	v_add_f16_e32 v34, v47, v48
	;; [unrolled: 1-line block ×3, first 2 shown]
	v_fmac_f16_e32 v31, -0.5, v1
	v_sub_f16_e32 v1, v57, v46
	v_fmac_f16_e32 v30, -0.5, v13
	v_fma_f16 v13, -0.5, v32, v2
	v_add_f16_e32 v15, v0, v33
	v_add_f16_e32 v33, v3, v47
	v_fmac_f16_e32 v3, -0.5, v34
	v_sub_f16_e32 v32, v47, v48
	v_add_f16_e32 v0, v18, v46
	v_fmamk_f16 v18, v1, 0x3aee, v31
	v_fmac_f16_e32 v31, 0xbaee, v1
	v_fmamk_f16 v1, v14, 0xbaee, v13
	v_fmac_f16_e32 v13, 0x3aee, v14
	v_add_f16_e32 v14, v33, v48
	v_fmamk_f16 v2, v16, 0xbaee, v3
	v_fmac_f16_e32 v3, 0x3aee, v16
	v_add_f16_e32 v17, v17, v45
	v_fmamk_f16 v16, v32, 0x3aee, v30
	v_fmac_f16_e32 v30, 0xbaee, v32
	v_pack_b32_f16 v32, v0, v15
	v_pack_b32_f16 v33, v1, v18
	;; [unrolled: 1-line block ×6, first 2 shown]
	ds_write2_b32 v50, v32, v33 offset1:14
	ds_write_b32 v50, v34 offset:112
	ds_write2_b32 v49, v45, v46 offset1:14
	ds_write_b32 v49, v47 offset:112
	s_waitcnt lgkmcnt(0)
	s_barrier
	buffer_gl0_inv
	s_and_saveexec_b32 s1, s0
	s_cbranch_execz .LBB0_15
; %bb.14:
	v_add_nc_u32_e32 v2, 0x200, v42
	v_add_nc_u32_e32 v3, 0x600, v42
	;; [unrolled: 1-line block ×4, first 2 shown]
	ds_read2_b32 v[0:1], v42 offset1:126
	ds_read2_b32 v[13:14], v2 offset0:124 offset1:250
	ds_read2_b32 v[2:3], v3 offset0:120 offset1:246
	;; [unrolled: 1-line block ×4, first 2 shown]
	ds_read_b32 v53, v42 offset:5040
	s_waitcnt lgkmcnt(3)
	v_lshrrev_b32_e32 v16, 16, v2
	v_lshrrev_b32_e32 v15, 16, v0
	;; [unrolled: 1-line block ×6, first 2 shown]
	s_waitcnt lgkmcnt(2)
	v_lshrrev_b32_e32 v29, 16, v25
	v_lshrrev_b32_e32 v51, 16, v26
	s_waitcnt lgkmcnt(1)
	v_lshrrev_b32_e32 v52, 16, v27
	v_lshrrev_b32_e32 v54, 16, v28
	s_waitcnt lgkmcnt(0)
	v_lshrrev_b32_e32 v55, 16, v53
.LBB0_15:
	s_or_b32 exec_lo, exec_lo, s1
	s_barrier
	buffer_gl0_inv
	s_and_saveexec_b32 s1, s0
	s_cbranch_execz .LBB0_17
; %bb.16:
	v_mul_f16_sdwa v33, v8, v1 dst_sel:DWORD dst_unused:UNUSED_PAD src0_sel:WORD_1 src1_sel:DWORD
	v_mul_f16_sdwa v32, v20, v53 dst_sel:DWORD dst_unused:UNUSED_PAD src0_sel:WORD_1 src1_sel:DWORD
	;; [unrolled: 1-line block ×5, first 2 shown]
	v_fma_f16 v18, v8, v18, -v33
	v_mul_f16_sdwa v33, v19, v28 dst_sel:DWORD dst_unused:UNUSED_PAD src0_sel:WORD_1 src1_sel:DWORD
	v_fma_f16 v32, v20, v55, -v32
	v_fmac_f16_e32 v45, v20, v53
	v_fmac_f16_e32 v34, v8, v1
	v_mul_f16_sdwa v53, v6, v26 dst_sel:DWORD dst_unused:UNUSED_PAD src0_sel:WORD_1 src1_sel:DWORD
	v_fma_f16 v20, v19, v54, -v33
	v_fma_f16 v33, v9, v31, -v46
	v_mul_f16_sdwa v46, v19, v54 dst_sel:DWORD dst_unused:UNUSED_PAD src0_sel:WORD_1 src1_sel:DWORD
	v_add_f16_e32 v8, v32, v18
	v_mul_f16_sdwa v31, v9, v31 dst_sel:DWORD dst_unused:UNUSED_PAD src0_sel:WORD_1 src1_sel:DWORD
	v_sub_f16_e32 v48, v34, v45
	v_add_f16_e32 v49, v20, v33
	v_fmac_f16_e32 v46, v19, v28
	v_mul_f16_sdwa v19, v7, v27 dst_sel:DWORD dst_unused:UNUSED_PAD src0_sel:WORD_1 src1_sel:DWORD
	v_mul_f16_sdwa v28, v10, v14 dst_sel:DWORD dst_unused:UNUSED_PAD src0_sel:WORD_1 src1_sel:DWORD
	v_mul_f16_e32 v47, 0xbbad, v8
	v_fmac_f16_e32 v31, v9, v13
	v_mul_f16_sdwa v54, v11, v2 dst_sel:DWORD dst_unused:UNUSED_PAD src0_sel:WORD_1 src1_sel:DWORD
	v_fma_f16 v19, v7, v52, -v19
	v_fma_f16 v28, v10, v17, -v28
	v_mul_f16_sdwa v17, v10, v17 dst_sel:DWORD dst_unused:UNUSED_PAD src0_sel:WORD_1 src1_sel:DWORD
	v_mul_f16_sdwa v52, v7, v52 dst_sel:DWORD dst_unused:UNUSED_PAD src0_sel:WORD_1 src1_sel:DWORD
	v_fmamk_f16 v9, v48, 0x3482, v47
	v_mul_f16_e32 v13, 0x3abb, v49
	v_sub_f16_e32 v1, v31, v46
	v_add_f16_e32 v55, v19, v28
	v_fmac_f16_e32 v17, v10, v14
	v_fmac_f16_e32 v52, v7, v27
	v_fma_f16 v7, v6, v51, -v53
	v_fma_f16 v10, v11, v16, -v54
	v_mul_f16_sdwa v14, v11, v16 dst_sel:DWORD dst_unused:UNUSED_PAD src0_sel:WORD_1 src1_sel:DWORD
	v_mul_f16_sdwa v16, v6, v51 dst_sel:DWORD dst_unused:UNUSED_PAD src0_sel:WORD_1 src1_sel:DWORD
	v_add_f16_e32 v9, v15, v9
	v_fmamk_f16 v50, v1, 0xb853, v13
	v_mul_f16_e32 v27, 0xb93d, v55
	v_sub_f16_e32 v51, v17, v52
	v_add_f16_e32 v53, v7, v10
	v_fmac_f16_e32 v14, v11, v2
	v_fmac_f16_e32 v16, v6, v26
	v_add_f16_e32 v2, v50, v9
	v_fmamk_f16 v6, v51, 0x3a0c, v27
	v_mul_f16_e32 v9, 0x36a6, v53
	v_mul_f16_sdwa v26, v5, v25 dst_sel:DWORD dst_unused:UNUSED_PAD src0_sel:WORD_1 src1_sel:DWORD
	v_sub_f16_e32 v11, v14, v16
	v_mul_f16_sdwa v50, v4, v3 dst_sel:DWORD dst_unused:UNUSED_PAD src0_sel:WORD_1 src1_sel:DWORD
	v_add_f16_e32 v2, v6, v2
	v_add_f16_e32 v54, v45, v34
	v_sub_f16_e32 v58, v33, v20
	v_fmamk_f16 v6, v11, 0xbb47, v9
	v_fma_f16 v50, v4, v30, -v50
	v_mul_f16_sdwa v30, v4, v30 dst_sel:DWORD dst_unused:UNUSED_PAD src0_sel:WORD_1 src1_sel:DWORD
	v_sub_f16_e32 v59, v28, v19
	v_add_f16_e32 v62, v52, v17
	v_add_f16_e32 v2, v6, v2
	v_fma_f16 v6, v5, v29, -v26
	v_sub_f16_e32 v26, v18, v32
	v_mul_f16_sdwa v29, v5, v29 dst_sel:DWORD dst_unused:UNUSED_PAD src0_sel:WORD_1 src1_sel:DWORD
	v_fmac_f16_e32 v30, v4, v3
	v_add_f16_e32 v4, v46, v31
	v_mul_f16_e32 v63, 0xba0c, v59
	v_mul_f16_e32 v56, 0xb482, v26
	v_fmac_f16_e32 v29, v5, v25
	v_mul_f16_e32 v5, 0x3853, v58
	v_add_f16_e32 v66, v16, v14
	v_fmamk_f16 v65, v62, 0xb93d, v63
	v_fmamk_f16 v3, v54, 0xbbad, v56
	v_add_f16_e32 v71, v29, v30
	v_fmamk_f16 v61, v4, 0x3abb, v5
	v_mul_f16_e32 v75, 0xba0c, v26
	v_mul_f16_e32 v77, 0x3beb, v58
	v_add_f16_e32 v3, v0, v3
	v_mul_f16_e32 v80, 0xb853, v59
	v_mul_f16_e32 v87, 0xbbeb, v26
	;; [unrolled: 1-line block ×3, first 2 shown]
	v_fmamk_f16 v79, v4, 0xb08e, v77
	v_add_f16_e32 v3, v61, v3
	v_sub_f16_e32 v61, v10, v7
	v_mul_f16_e32 v92, 0x3b47, v59
	v_fmamk_f16 v91, v4, 0xbbad, v89
	v_add_f16_e32 v57, v6, v50
	v_add_f16_e32 v3, v65, v3
	v_mul_f16_e32 v67, 0x3b47, v61
	v_sub_f16_e32 v65, v50, v6
	v_mul_f16_e32 v82, 0xb482, v61
	v_mul_f16_e32 v94, 0xb853, v61
	;; [unrolled: 1-line block ×3, first 2 shown]
	v_fmamk_f16 v70, v66, 0x36a6, v67
	v_mul_f16_e32 v72, 0xbbeb, v65
	v_mul_f16_e32 v84, 0x3b47, v65
	v_sub_f16_e32 v60, v30, v29
	v_mul_f16_e32 v96, 0xba0c, v65
	v_add_f16_e32 v3, v70, v3
	v_fmamk_f16 v70, v71, 0xb08e, v72
	v_mul_f16_e32 v102, 0xba0c, v58
	v_fmamk_f16 v64, v60, 0x3beb, v25
	v_fmamk_f16 v99, v71, 0xb93d, v96
	v_mul_f16_e32 v81, 0xb08e, v8
	v_add_f16_e32 v3, v70, v3
	v_fmamk_f16 v70, v54, 0xb93d, v75
	v_add_f16_e32 v2, v64, v2
	v_mul_f16_e32 v64, 0xb93d, v8
	v_mul_f16_e32 v93, 0x36a6, v8
	;; [unrolled: 1-line block ×3, first 2 shown]
	v_add_f16_e32 v70, v0, v70
	v_mul_f16_e32 v8, 0x3abb, v8
	v_mul_f16_e32 v69, 0xb08e, v49
	;; [unrolled: 1-line block ×4, first 2 shown]
	v_add_f16_e32 v70, v79, v70
	v_fmamk_f16 v79, v62, 0x3abb, v80
	v_fmamk_f16 v104, v48, 0x3853, v8
	v_mul_f16_e32 v49, 0x36a6, v49
	v_mul_f16_e32 v74, 0x3abb, v55
	;; [unrolled: 1-line block ×3, first 2 shown]
	v_add_f16_e32 v70, v79, v70
	v_fmamk_f16 v79, v66, 0xbbad, v82
	v_mul_f16_e32 v98, 0xbbad, v55
	v_mul_f16_e32 v55, 0xb08e, v55
	v_add_f16_e32 v34, v0, v34
	v_mul_f16_e32 v76, 0xbbad, v53
	v_add_f16_e32 v70, v79, v70
	v_fmamk_f16 v79, v71, 0x36a6, v84
	v_mul_f16_e32 v88, 0x3abb, v53
	v_mul_f16_e32 v100, 0xb08e, v53
	v_mul_f16_e32 v53, 0xb93d, v53
	v_add_f16_e32 v18, v18, v15
	v_add_f16_e32 v70, v79, v70
	v_fmamk_f16 v79, v54, 0xb08e, v87
	v_add_f16_e32 v31, v31, v34
	v_fmamk_f16 v34, v11, 0x3a0c, v53
	;; [unrolled: 2-line block ×3, first 2 shown]
	v_add_f16_e32 v79, v0, v79
	v_add_f16_e32 v17, v17, v31
	v_fmamk_f16 v73, v1, 0xbbeb, v69
	v_add_f16_e32 v18, v28, v18
	v_add_f16_e32 v68, v15, v68
	v_add_f16_e32 v79, v91, v79
	v_fmamk_f16 v91, v62, 0x36a6, v92
	v_add_f16_e32 v14, v14, v17
	v_add_f16_e32 v10, v10, v18
	v_mul_f16_e32 v18, 0xbbeb, v59
	v_add_f16_e32 v68, v73, v68
	v_add_f16_e32 v79, v91, v79
	v_fmamk_f16 v91, v66, 0x3abb, v94
	v_add_f16_e32 v14, v30, v14
	v_add_f16_e32 v10, v50, v10
	v_fmamk_f16 v73, v51, 0x3853, v74
	v_fmac_f16_e32 v47, 0xb482, v48
	v_add_f16_e32 v79, v91, v79
	v_mul_f16_e32 v91, 0xbb47, v26
	v_mul_f16_e32 v26, 0xb853, v26
	v_add_f16_e32 v14, v29, v14
	v_fmamk_f16 v29, v62, 0xb08e, v18
	v_add_f16_e32 v79, v99, v79
	v_fmamk_f16 v101, v54, 0x36a6, v91
	v_fmamk_f16 v33, v54, 0x3abb, v26
	v_add_f16_e32 v6, v6, v10
	v_add_f16_e32 v10, v16, v14
	;; [unrolled: 1-line block ×4, first 2 shown]
	v_fmamk_f16 v101, v4, 0xb93d, v102
	v_add_f16_e32 v28, v0, v33
	v_add_f16_e32 v6, v7, v6
	;; [unrolled: 1-line block ×3, first 2 shown]
	v_fmamk_f16 v73, v11, 0x3482, v76
	v_add_f16_e32 v99, v101, v99
	v_fmamk_f16 v101, v62, 0xbbad, v103
	v_mul_f16_e32 v78, 0x36a6, v57
	v_fmac_f16_e32 v13, 0x3853, v1
	v_add_f16_e32 v68, v73, v68
	v_fmac_f16_e32 v27, 0xba0c, v51
	v_add_f16_e32 v99, v101, v99
	v_add_f16_e32 v101, v15, v104
	v_fmamk_f16 v104, v1, 0x3b47, v49
	v_fmamk_f16 v73, v60, 0xbb47, v78
	v_fmac_f16_e32 v64, 0xba0c, v48
	v_fma_f16 v5, v4, 0x3abb, -v5
	v_fmac_f16_e32 v9, 0x3b47, v11
	v_add_f16_e32 v101, v104, v101
	v_fmamk_f16 v104, v51, 0x3beb, v55
	v_add_f16_e32 v68, v73, v68
	v_fmamk_f16 v73, v48, 0x3beb, v81
	v_fmac_f16_e32 v69, 0x3beb, v1
	v_fmamk_f16 v85, v1, 0xb482, v83
	v_add_f16_e32 v101, v104, v101
	v_add_f16_e32 v6, v19, v6
	;; [unrolled: 1-line block ×3, first 2 shown]
	v_fma_f16 v19, v4, 0xb08e, -v77
	v_mul_f16_e32 v90, 0xb93d, v57
	v_add_f16_e32 v31, v34, v101
	v_mul_f16_e32 v34, 0xbb47, v58
	v_add_f16_e32 v73, v85, v73
	v_fmamk_f16 v85, v51, 0xbb47, v86
	v_fmac_f16_e32 v25, 0xbbeb, v60
	v_fmamk_f16 v97, v1, 0x3a0c, v95
	v_fmamk_f16 v33, v4, 0x36a6, v34
	v_fmac_f16_e32 v81, 0xbbeb, v48
	v_add_f16_e32 v73, v85, v73
	v_fmamk_f16 v85, v11, 0x3853, v88
	v_fmac_f16_e32 v8, 0xb853, v48
	v_add_f16_e32 v28, v33, v28
	v_mul_f16_e32 v33, 0xba0c, v61
	v_fma_f16 v26, v54, 0x3abb, -v26
	v_add_f16_e32 v73, v85, v73
	v_fmamk_f16 v85, v60, 0x3a0c, v90
	v_add_f16_e32 v14, v29, v28
	v_fmamk_f16 v16, v66, 0xb93d, v33
	v_mul_f16_e32 v28, 0xb482, v65
	v_fma_f16 v29, v4, 0xb93d, -v102
	v_add_f16_e32 v73, v85, v73
	v_fmamk_f16 v85, v48, 0x3b47, v93
	v_add_f16_e32 v10, v16, v14
	v_fmamk_f16 v14, v71, 0xbbad, v28
	v_add_f16_e32 v16, v15, v47
	v_fmac_f16_e32 v93, 0xbb47, v48
	v_add_f16_e32 v85, v15, v85
	v_mul_f16_e32 v106, 0x3beb, v61
	v_add_f16_e32 v10, v14, v10
	v_fma_f16 v14, v54, 0xbbad, -v56
	v_add_f16_e32 v13, v13, v16
	v_add_f16_e32 v16, v15, v64
	;; [unrolled: 1-line block ×3, first 2 shown]
	v_fmamk_f16 v97, v51, 0xb482, v98
	v_add_f16_e32 v14, v0, v14
	v_add_f16_e32 v13, v27, v13
	v_fma_f16 v27, v71, 0xb93d, -v96
	v_add_f16_e32 v6, v20, v6
	v_add_f16_e32 v85, v97, v85
	;; [unrolled: 1-line block ×3, first 2 shown]
	v_fma_f16 v14, v62, 0xb93d, -v63
	v_add_f16_e32 v9, v9, v13
	v_add_f16_e32 v13, v69, v16
	v_fma_f16 v16, v54, 0xb93d, -v75
	v_fmamk_f16 v97, v11, 0xbbeb, v100
	v_add_f16_e32 v5, v14, v5
	v_fma_f16 v14, v66, 0x36a6, -v67
	v_add_f16_e32 v9, v25, v9
	v_add_f16_e32 v16, v0, v16
	v_fma_f16 v25, v4, 0xbbad, -v89
	v_add_f16_e32 v85, v97, v85
	v_add_f16_e32 v5, v14, v5
	v_fma_f16 v14, v71, 0xb08e, -v72
	v_mul_f16_e32 v97, 0x3abb, v57
	v_add_f16_e32 v20, v15, v81
	v_fmac_f16_e32 v83, 0x3482, v1
	v_fmac_f16_e32 v95, 0xba0c, v1
	v_add_f16_e32 v5, v14, v5
	v_add_f16_e32 v14, v19, v16
	v_fma_f16 v16, v62, 0x3abb, -v80
	v_fma_f16 v19, v54, 0xb08e, -v87
	v_add_f16_e32 v8, v15, v8
	v_fmac_f16_e32 v49, 0xbb47, v1
	v_fma_f16 v4, v4, 0x36a6, -v34
	v_add_f16_e32 v14, v16, v14
	v_fma_f16 v16, v66, 0xbbad, -v82
	v_add_f16_e32 v19, v0, v19
	v_fmamk_f16 v105, v60, 0xb853, v97
	v_mul_f16_e32 v17, 0xbbad, v57
	v_fmac_f16_e32 v74, 0xb853, v51
	v_add_f16_e32 v14, v16, v14
	v_fma_f16 v16, v71, 0x36a6, -v84
	v_add_f16_e32 v19, v25, v19
	v_fma_f16 v25, v62, 0x36a6, -v92
	v_add_f16_e32 v20, v83, v20
	v_fmac_f16_e32 v86, 0x3b47, v51
	v_add_f16_e32 v14, v16, v14
	v_fmac_f16_e32 v98, 0x3482, v51
	v_add_f16_e32 v16, v25, v19
	v_fma_f16 v19, v66, 0x3abb, -v94
	v_add_f16_e32 v25, v15, v93
	v_fma_f16 v15, v66, 0xb08e, -v106
	v_add_f16_e32 v8, v49, v8
	v_fmac_f16_e32 v55, 0xbbeb, v51
	v_add_f16_e32 v16, v19, v16
	v_fma_f16 v19, v54, 0x36a6, -v91
	v_add_f16_e32 v25, v95, v25
	v_fmamk_f16 v107, v66, 0xb08e, v106
	v_add_f16_e32 v85, v105, v85
	v_add_f16_e32 v16, v27, v16
	;; [unrolled: 1-line block ×3, first 2 shown]
	v_fma_f16 v27, v62, 0xbbad, -v103
	v_add_f16_e32 v0, v0, v26
	v_mul_f16_e32 v105, 0x3853, v65
	v_fmamk_f16 v30, v60, 0x3482, v17
	v_add_f16_e32 v19, v29, v19
	v_add_f16_e32 v7, v46, v7
	;; [unrolled: 1-line block ×3, first 2 shown]
	v_fma_f16 v4, v62, 0xb08e, -v18
	v_add_f16_e32 v13, v74, v13
	v_add_f16_e32 v1, v27, v19
	v_fmac_f16_e32 v76, 0xb482, v11
	v_add_f16_e32 v20, v86, v20
	v_fmac_f16_e32 v88, 0xb853, v11
	v_add_f16_e32 v25, v98, v25
	v_add_f16_e32 v1, v15, v1
	v_mov_b32_e32 v15, 0x1ce
	v_fmac_f16_e32 v100, 0x3beb, v11
	v_add_f16_e32 v8, v55, v8
	v_fmac_f16_e32 v53, 0xba0c, v11
	v_add_f16_e32 v0, v4, v0
	v_fma_f16 v4, v66, 0xb93d, -v33
	v_add_f16_e32 v99, v107, v99
	v_fmamk_f16 v107, v71, 0x3abb, v105
	v_add_f16_e32 v30, v30, v31
	v_add_f16_e32 v7, v45, v7
	;; [unrolled: 1-line block ×3, first 2 shown]
	v_mul_u32_u24_sdwa v15, v44, v15 dst_sel:DWORD dst_unused:UNUSED_PAD src0_sel:WORD_0 src1_sel:DWORD
	v_add_f16_e32 v13, v76, v13
	v_fmac_f16_e32 v78, 0x3b47, v60
	v_add_f16_e32 v20, v88, v20
	v_fmac_f16_e32 v90, 0xba0c, v60
	v_add_f16_e32 v25, v100, v25
	v_fmac_f16_e32 v97, 0x3853, v60
	v_fma_f16 v11, v71, 0x3abb, -v105
	v_add_f16_e32 v8, v53, v8
	v_fmac_f16_e32 v17, 0xb482, v60
	v_add_f16_e32 v0, v4, v0
	v_fma_f16 v4, v71, 0xbbad, -v28
	v_add_f16_e32 v99, v107, v99
	v_add_lshl_u32 v15, v15, v43, 2
	v_pack_b32_f16 v6, v7, v6
	v_pack_b32_f16 v7, v10, v30
	v_add_f16_e32 v13, v78, v13
	v_add_f16_e32 v20, v90, v20
	;; [unrolled: 1-line block ×6, first 2 shown]
	ds_write2_b32 v15, v6, v7 offset1:42
	v_pack_b32_f16 v4, v99, v85
	v_pack_b32_f16 v6, v79, v73
	;; [unrolled: 1-line block ×6, first 2 shown]
	v_add_nc_u32_e32 v9, 0x200, v15
	v_pack_b32_f16 v11, v16, v20
	v_pack_b32_f16 v1, v1, v10
	v_add_nc_u32_e32 v10, 0x400, v15
	v_pack_b32_f16 v0, v0, v8
	ds_write2_b32 v15, v4, v6 offset0:84 offset1:126
	ds_write2_b32 v15, v7, v2 offset0:168 offset1:210
	;; [unrolled: 1-line block ×4, first 2 shown]
	ds_write_b32 v15, v0 offset:1680
.LBB0_17:
	s_or_b32 exec_lo, exec_lo, s1
	v_add_nc_u32_e32 v7, 0x700, v42
	v_add_nc_u32_e32 v2, 0xe40, v42
	s_waitcnt lgkmcnt(0)
	s_barrier
	buffer_gl0_inv
	ds_read2_b32 v[0:1], v42 offset1:231
	ds_read2_b32 v[3:4], v7 offset0:14 offset1:245
	ds_read2_b32 v[5:6], v2 offset0:12 offset1:243
	s_mov_b32 s6, 0x5e918c
	s_mov_b32 s7, 0x3f47a463
	s_mul_i32 s3, s8, 0xad4
	s_waitcnt lgkmcnt(2)
	v_lshrrev_b32_e32 v8, 16, v0
	s_waitcnt lgkmcnt(1)
	v_lshrrev_b32_e32 v10, 16, v3
	;; [unrolled: 2-line block ×3, first 2 shown]
	v_mul_f16_sdwa v15, v21, v3 dst_sel:DWORD dst_unused:UNUSED_PAD src0_sel:WORD_1 src1_sel:DWORD
	v_lshrrev_b32_e32 v13, 16, v4
	v_lshrrev_b32_e32 v14, 16, v6
	v_mul_f16_sdwa v16, v22, v5 dst_sel:DWORD dst_unused:UNUSED_PAD src0_sel:WORD_1 src1_sel:DWORD
	v_mul_f16_sdwa v17, v23, v4 dst_sel:DWORD dst_unused:UNUSED_PAD src0_sel:WORD_1 src1_sel:DWORD
	;; [unrolled: 1-line block ×3, first 2 shown]
	v_fma_f16 v10, v21, v10, -v15
	v_mul_f16_sdwa v15, v22, v11 dst_sel:DWORD dst_unused:UNUSED_PAD src0_sel:WORD_1 src1_sel:DWORD
	v_fma_f16 v11, v22, v11, -v16
	v_mul_f16_sdwa v16, v23, v13 dst_sel:DWORD dst_unused:UNUSED_PAD src0_sel:WORD_1 src1_sel:DWORD
	;; [unrolled: 2-line block ×3, first 2 shown]
	v_mul_f16_sdwa v18, v24, v6 dst_sel:DWORD dst_unused:UNUSED_PAD src0_sel:WORD_1 src1_sel:DWORD
	v_fmac_f16_e32 v19, v21, v3
	v_fmac_f16_e32 v15, v22, v5
	;; [unrolled: 1-line block ×4, first 2 shown]
	v_add_f16_e32 v5, v10, v11
	v_lshrrev_b32_e32 v9, 16, v1
	v_fma_f16 v14, v24, v14, -v18
	v_add_f16_e32 v20, v19, v15
	v_add_f16_e32 v4, v8, v10
	;; [unrolled: 1-line block ×3, first 2 shown]
	v_fmac_f16_e32 v8, -0.5, v5
	v_sub_f16_e32 v5, v19, v15
	v_add_f16_e32 v19, v16, v17
	v_sub_f16_e32 v3, v10, v11
	v_sub_f16_e32 v6, v13, v14
	v_add_f16_e32 v10, v9, v13
	v_add_f16_e32 v13, v13, v14
	v_fma_f16 v0, -0.5, v20, v0
	v_add_f16_e32 v4, v4, v11
	v_add_f16_e32 v11, v1, v16
	v_fmac_f16_e32 v1, -0.5, v19
	v_fmac_f16_e32 v9, -0.5, v13
	v_add_f16_e32 v13, v18, v15
	v_fmamk_f16 v15, v5, 0x3aee, v8
	v_fmac_f16_e32 v8, 0xbaee, v5
	v_fmamk_f16 v5, v3, 0xbaee, v0
	v_fmac_f16_e32 v0, 0x3aee, v3
	v_sub_f16_e32 v3, v16, v17
	v_add_f16_e32 v11, v11, v17
	v_fmamk_f16 v16, v6, 0xbaee, v1
	v_fmac_f16_e32 v1, 0x3aee, v6
	v_add_f16_e32 v6, v10, v14
	v_fmamk_f16 v10, v3, 0x3aee, v9
	v_fmac_f16_e32 v9, 0xbaee, v3
	v_pack_b32_f16 v3, v13, v4
	v_pack_b32_f16 v4, v5, v15
	;; [unrolled: 1-line block ×6, first 2 shown]
	ds_write_b32 v42, v4 offset:1848
	ds_write_b32 v42, v0 offset:3696
	ds_write2_b32 v42, v3, v5 offset1:231
	ds_write_b32 v42, v6 offset:2772
	ds_write_b32 v42, v1 offset:4620
	s_waitcnt lgkmcnt(0)
	s_barrier
	buffer_gl0_inv
	ds_read2_b32 v[3:4], v42 offset1:231
	ds_read2_b32 v[0:1], v7 offset0:14 offset1:245
	v_mad_u64_u32 v[13:14], null, s10, v12, 0
	v_mad_u64_u32 v[17:18], null, s8, v39, 0
	s_waitcnt lgkmcnt(1)
	v_lshrrev_b32_e32 v5, 16, v3
	v_mul_f16_sdwa v6, v41, v3 dst_sel:DWORD dst_unused:UNUSED_PAD src0_sel:WORD_1 src1_sel:DWORD
	s_waitcnt lgkmcnt(0)
	v_lshrrev_b32_e32 v7, 16, v1
	v_mul_f16_sdwa v8, v40, v1 dst_sel:DWORD dst_unused:UNUSED_PAD src0_sel:WORD_1 src1_sel:DWORD
	v_lshrrev_b32_e32 v20, 16, v4
	v_mul_f16_sdwa v9, v41, v5 dst_sel:DWORD dst_unused:UNUSED_PAD src0_sel:WORD_1 src1_sel:DWORD
	v_fma_f16 v6, v41, v5, -v6
	v_mul_f16_sdwa v11, v40, v7 dst_sel:DWORD dst_unused:UNUSED_PAD src0_sel:WORD_1 src1_sel:DWORD
	v_fma_f16 v5, v40, v7, -v8
	v_fmac_f16_e32 v9, v41, v3
	v_cvt_f32_f16_e32 v6, v6
	v_fmac_f16_e32 v11, v40, v1
	v_cvt_f32_f16_e32 v3, v5
	v_cvt_f32_f16_e32 v9, v9
	v_cvt_f64_f32_e32 v[5:6], v6
	v_cvt_f32_f16_e32 v1, v11
	v_cvt_f64_f32_e32 v[7:8], v3
	v_mov_b32_e32 v3, v18
	v_cvt_f64_f32_e32 v[9:10], v9
	v_cvt_f64_f32_e32 v[15:16], v1
	v_mov_b32_e32 v1, v14
	v_mad_u64_u32 v[18:19], null, s9, v39, v[3:4]
	v_mad_u64_u32 v[11:12], null, s11, v12, v[1:2]
	v_mul_f16_sdwa v1, v38, v20 dst_sel:DWORD dst_unused:UNUSED_PAD src0_sel:WORD_1 src1_sel:DWORD
	v_fmac_f16_e32 v1, v38, v4
	v_mov_b32_e32 v14, v11
	v_mul_f64 v[5:6], v[5:6], s[6:7]
	v_mul_f64 v[7:8], v[7:8], s[6:7]
	v_cvt_f32_f16_e32 v1, v1
	v_mul_f64 v[9:10], v[9:10], s[6:7]
	v_lshlrev_b64 v[13:14], 2, v[13:14]
	v_mul_f64 v[11:12], v[15:16], s[6:7]
	v_cvt_f64_f32_e32 v[15:16], v1
	v_and_or_b32 v1, 0x1ff, v6, v5
	v_bfe_u32 v5, v6, 20, 11
	v_and_or_b32 v7, 0x1ff, v8, v7
	v_lshrrev_b32_e32 v3, 8, v6
	v_and_or_b32 v9, 0x1ff, v10, v9
	v_cmp_ne_u32_e32 vcc_lo, 0, v1
	v_lshrrev_b32_e32 v22, 8, v10
	v_bfe_u32 v23, v10, 20, 11
	v_and_or_b32 v11, 0x1ff, v12, v11
	v_lshrrev_b32_e32 v19, 8, v8
	v_cndmask_b32_e64 v1, 0, 1, vcc_lo
	v_cmp_ne_u32_e32 vcc_lo, 0, v7
	v_sub_nc_u32_e32 v24, 0x3f1, v5
	v_bfe_u32 v26, v12, 20, 11
	v_sub_nc_u32_e32 v28, 0x3f1, v23
	v_lshrrev_b32_e32 v25, 8, v12
	v_cndmask_b32_e64 v7, 0, 1, vcc_lo
	v_cmp_ne_u32_e32 vcc_lo, 0, v9
	v_and_or_b32 v1, 0xffe, v3, v1
	v_med3_i32 v3, v24, 0, 13
	v_add_nc_u32_e32 v24, 0xfffffc10, v26
	v_and_or_b32 v7, 0xffe, v19, v7
	v_cndmask_b32_e64 v9, 0, 1, vcc_lo
	v_cmp_ne_u32_e32 vcc_lo, 0, v11
	v_med3_i32 v19, v28, 0, 13
	v_or_b32_e32 v28, 0x1000, v1
	v_add_nc_u32_e32 v5, 0xfffffc10, v5
	v_and_or_b32 v9, 0xffe, v22, v9
	v_cndmask_b32_e64 v11, 0, 1, vcc_lo
	v_sub_nc_u32_e32 v22, 0x3f1, v26
	v_cmp_ne_u32_e32 vcc_lo, 0, v1
	v_lshrrev_b32_e32 v30, v3, v28
	v_or_b32_e32 v26, 0x1000, v9
	v_and_or_b32 v11, 0xffe, v25, v11
	v_lshl_or_b32 v29, v5, 12, v1
	v_cndmask_b32_e64 v1, 0, 1, vcc_lo
	v_lshlrev_b32_e32 v3, v3, v30
	v_lshrrev_b32_e32 v25, v19, v26
	v_add_nc_u32_e32 v23, 0xfffffc10, v23
	v_med3_i32 v22, v22, 0, 13
	v_or_b32_e32 v31, 0x1000, v11
	v_bfe_u32 v21, v8, 20, 11
	v_lshlrev_b32_e32 v19, v19, v25
	v_lshl_or_b32 v33, v23, 12, v9
	v_or_b32_e32 v32, 0x1000, v7
	v_lshrrev_b32_e32 v34, v22, v31
	v_sub_nc_u32_e32 v27, 0x3f1, v21
	v_cmp_ne_u32_e32 vcc_lo, v19, v26
	v_lshl_or_b32 v26, v24, 12, v11
	v_lshl_or_b32 v1, v1, 9, 0x7c00
	v_lshlrev_b32_e32 v22, v22, v34
	v_med3_i32 v27, v27, 0, 13
	v_cndmask_b32_e64 v19, 0, 1, vcc_lo
	v_cmp_ne_u32_e32 vcc_lo, v3, v28
	v_lshrrev_b32_e32 v6, 16, v6
	v_lshrrev_b32_e32 v10, 16, v10
	v_add_nc_u32_e32 v21, 0xfffffc10, v21
	v_or_b32_e32 v19, v25, v19
	v_cndmask_b32_e64 v3, 0, 1, vcc_lo
	v_cmp_ne_u32_e32 vcc_lo, 0, v9
	v_lshrrev_b32_e32 v12, 16, v12
	v_or_b32_e32 v3, v30, v3
	v_cndmask_b32_e64 v9, 0, 1, vcc_lo
	v_cmp_gt_i32_e32 vcc_lo, 1, v23
	v_lshl_or_b32 v9, v9, 9, 0x7c00
	v_cndmask_b32_e32 v19, v33, v19, vcc_lo
	v_cmp_gt_i32_e32 vcc_lo, 1, v5
	v_and_b32_e32 v25, 7, v19
	v_cndmask_b32_e32 v3, v29, v3, vcc_lo
	v_cmp_ne_u32_e32 vcc_lo, v22, v31
	v_lshrrev_b32_e32 v19, 2, v19
	v_cmp_eq_u32_e64 s0, 3, v25
	v_and_b32_e32 v28, 7, v3
	v_cndmask_b32_e64 v22, 0, 1, vcc_lo
	v_cmp_lt_i32_e32 vcc_lo, 5, v25
	v_lshrrev_b32_e32 v3, 2, v3
	v_cmp_lt_i32_e64 s1, 5, v28
	v_cmp_eq_u32_e64 s2, 3, v28
	s_or_b32 vcc_lo, s0, vcc_lo
	v_or_b32_e32 v22, v34, v22
	v_add_co_ci_u32_e32 v19, vcc_lo, 0, v19, vcc_lo
	s_or_b32 vcc_lo, s2, s1
	s_mul_hi_u32 s2, s8, 0xad4
	v_add_co_ci_u32_e32 v3, vcc_lo, 0, v3, vcc_lo
	v_cmp_gt_i32_e32 vcc_lo, 31, v23
	v_cndmask_b32_e32 v19, 0x7c00, v19, vcc_lo
	v_cmp_gt_i32_e32 vcc_lo, 1, v24
	v_cndmask_b32_e32 v22, v26, v22, vcc_lo
	;; [unrolled: 2-line block ×3, first 2 shown]
	v_cmp_eq_u32_e32 vcc_lo, 0x40f, v23
	v_lshrrev_b32_e32 v23, v27, v32
	v_cndmask_b32_e32 v9, v19, v9, vcc_lo
	v_cmp_eq_u32_e32 vcc_lo, 0x40f, v5
	v_and_b32_e32 v19, 7, v22
	v_lshrrev_b32_e32 v5, 2, v22
	v_cndmask_b32_e32 v1, v3, v1, vcc_lo
	v_cmp_lt_i32_e32 vcc_lo, 5, v19
	v_cmp_eq_u32_e64 s0, 3, v19
	v_and_or_b32 v3, 0x8000, v10, v9
	v_lshl_or_b32 v10, v21, 12, v7
	v_and_or_b32 v1, 0x8000, v6, v1
	v_lshlrev_b32_e32 v6, v27, v23
	s_or_b32 vcc_lo, s0, vcc_lo
	v_and_b32_e32 v3, 0xffff, v3
	v_add_co_ci_u32_e32 v9, vcc_lo, 0, v5, vcc_lo
	v_cmp_ne_u32_e32 vcc_lo, v6, v32
	v_mul_f64 v[5:6], v[15:16], s[6:7]
	v_lshl_or_b32 v19, v1, 16, v3
	v_mul_f16_sdwa v3, v38, v4 dst_sel:DWORD dst_unused:UNUSED_PAD src0_sel:WORD_1 src1_sel:DWORD
	v_cndmask_b32_e64 v1, 0, 1, vcc_lo
	v_cmp_ne_u32_e32 vcc_lo, 0, v11
	v_fma_f16 v3, v38, v20, -v3
	v_or_b32_e32 v1, v23, v1
	v_cndmask_b32_e64 v4, 0, 1, vcc_lo
	v_cmp_gt_i32_e32 vcc_lo, 31, v24
	v_lshl_or_b32 v4, v4, 9, 0x7c00
	v_cndmask_b32_e32 v9, 0x7c00, v9, vcc_lo
	v_cmp_gt_i32_e32 vcc_lo, 1, v21
	v_cndmask_b32_e32 v11, v10, v1, vcc_lo
	v_cvt_f32_f16_e32 v1, v3
	v_cmp_eq_u32_e32 vcc_lo, 0x40f, v24
	v_and_or_b32 v5, 0x1ff, v6, v5
	v_and_b32_e32 v16, 7, v11
	v_lshrrev_b32_e32 v11, 2, v11
	v_cndmask_b32_e32 v15, v9, v4, vcc_lo
	v_cvt_f64_f32_e32 v[3:4], v1
	ds_read2_b32 v[1:2], v2 offset0:12 offset1:243
	v_add_co_u32 v13, vcc_lo, s4, v13
	v_cmp_ne_u32_e64 s1, 0, v5
	v_add_co_ci_u32_e32 v14, vcc_lo, s5, v14, vcc_lo
	v_cmp_lt_i32_e32 vcc_lo, 5, v16
	v_cmp_eq_u32_e64 s0, 3, v16
	v_and_or_b32 v12, 0x8000, v12, v15
	v_cndmask_b32_e64 v5, 0, 1, s1
	v_lshrrev_b32_e32 v15, 8, v6
	v_bfe_u32 v16, v6, 20, 11
	s_or_b32 vcc_lo, s0, vcc_lo
	v_lshlrev_b64 v[9:10], 2, v[17:18]
	v_add_co_ci_u32_e32 v11, vcc_lo, 0, v11, vcc_lo
	v_cmp_ne_u32_e32 vcc_lo, 0, v7
	v_and_or_b32 v5, 0xffe, v15, v5
	v_sub_nc_u32_e32 v15, 0x3f1, v16
	v_and_b32_e32 v12, 0xffff, v12
	s_waitcnt lgkmcnt(0)
	v_lshrrev_b32_e32 v17, 16, v1
	v_mul_f64 v[3:4], v[3:4], s[6:7]
	v_cndmask_b32_e64 v7, 0, 1, vcc_lo
	v_cmp_gt_i32_e32 vcc_lo, 31, v21
	v_or_b32_e32 v18, 0x1000, v5
	v_med3_i32 v15, v15, 0, 13
	v_mul_f16_sdwa v20, v37, v17 dst_sel:DWORD dst_unused:UNUSED_PAD src0_sel:WORD_1 src1_sel:DWORD
	v_lshl_or_b32 v7, v7, 9, 0x7c00
	v_cndmask_b32_e32 v11, 0x7c00, v11, vcc_lo
	v_cmp_eq_u32_e32 vcc_lo, 0x40f, v21
	v_lshrrev_b32_e32 v22, v15, v18
	v_fmac_f16_e32 v20, v37, v1
	v_lshrrev_b32_e32 v21, 16, v8
	s_mul_i32 s0, s9, 0xad4
	v_cndmask_b32_e32 v11, v11, v7, vcc_lo
	v_add_co_u32 v7, vcc_lo, v13, v9
	v_lshlrev_b32_e32 v13, v15, v22
	v_cvt_f32_f16_e32 v9, v20
	v_add_co_ci_u32_e32 v8, vcc_lo, v14, v10, vcc_lo
	v_and_or_b32 v11, 0x8000, v21, v11
	v_cmp_ne_u32_e32 vcc_lo, v13, v18
	v_and_or_b32 v3, 0x1ff, v4, v3
	v_cvt_f64_f32_e32 v[9:10], v9
	v_add_nc_u32_e32 v13, 0xfffffc10, v16
	v_lshl_or_b32 v15, v11, 16, v12
	v_cndmask_b32_e64 v11, 0, 1, vcc_lo
	v_cmp_ne_u32_e32 vcc_lo, 0, v3
	v_lshrrev_b32_e32 v12, 8, v4
	v_bfe_u32 v14, v4, 20, 11
	v_lshl_or_b32 v16, v13, 12, v5
	v_or_b32_e32 v11, v22, v11
	v_cndmask_b32_e64 v3, 0, 1, vcc_lo
	v_cmp_gt_i32_e32 vcc_lo, 1, v13
	global_store_dword v[7:8], v19, off
	s_add_i32 s2, s2, s0
	v_mul_f16_sdwa v1, v37, v1 dst_sel:DWORD dst_unused:UNUSED_PAD src0_sel:WORD_1 src1_sel:DWORD
	v_and_or_b32 v3, 0xffe, v12, v3
	v_sub_nc_u32_e32 v12, 0x3f1, v14
	v_cndmask_b32_e32 v11, v16, v11, vcc_lo
	v_add_co_u32 v7, vcc_lo, v7, s3
	v_or_b32_e32 v16, 0x1000, v3
	v_med3_i32 v12, v12, 0, 13
	v_and_b32_e32 v18, 7, v11
	v_mul_f64 v[9:10], v[9:10], s[6:7]
	v_add_co_ci_u32_e32 v8, vcc_lo, s2, v8, vcc_lo
	v_lshrrev_b32_e32 v19, v12, v16
	v_cmp_lt_i32_e32 vcc_lo, 5, v18
	v_cmp_eq_u32_e64 s0, 3, v18
	v_fma_f16 v1, v37, v17, -v1
	v_lshrrev_b32_e32 v11, 2, v11
	v_lshlrev_b32_e32 v12, v12, v19
	v_add_nc_u32_e32 v14, 0xfffffc10, v14
	s_or_b32 vcc_lo, s0, vcc_lo
	v_cvt_f32_f16_e32 v1, v1
	v_add_co_ci_u32_e32 v17, vcc_lo, 0, v11, vcc_lo
	v_cmp_ne_u32_e64 s1, v12, v16
	v_cmp_ne_u32_e32 vcc_lo, 0, v5
	v_cvt_f64_f32_e32 v[11:12], v1
	v_lshrrev_b32_e32 v4, 16, v4
	v_cndmask_b32_e64 v16, 0, 1, s1
	v_cndmask_b32_e64 v5, 0, 1, vcc_lo
	v_cmp_gt_i32_e32 vcc_lo, 1, v14
	v_and_or_b32 v9, 0x1ff, v10, v9
	v_bfe_u32 v18, v10, 20, 11
	v_or_b32_e32 v1, v19, v16
	v_lshl_or_b32 v16, v14, 12, v3
	v_lshl_or_b32 v5, v5, 9, 0x7c00
	s_mul_i32 s1, s9, 0xfffff8c8
	s_sub_i32 s4, s1, s8
	v_cndmask_b32_e32 v1, v16, v1, vcc_lo
	v_cmp_ne_u32_e32 vcc_lo, 0, v9
	v_lshrrev_b32_e32 v16, 8, v10
	v_lshrrev_b32_e32 v10, 16, v10
	v_and_b32_e32 v19, 7, v1
	v_cndmask_b32_e64 v9, 0, 1, vcc_lo
	v_cmp_gt_i32_e32 vcc_lo, 31, v13
	v_mul_f64 v[11:12], v[11:12], s[6:7]
	v_lshrrev_b32_e32 v1, 2, v1
	v_cmp_eq_u32_e64 s0, 3, v19
	v_and_or_b32 v9, 0xffe, v16, v9
	v_cndmask_b32_e32 v17, 0x7c00, v17, vcc_lo
	v_cmp_eq_u32_e32 vcc_lo, 0x40f, v13
	v_sub_nc_u32_e32 v16, 0x3f1, v18
	v_cndmask_b32_e32 v13, v17, v5, vcc_lo
	v_cmp_lt_i32_e32 vcc_lo, 5, v19
	v_or_b32_e32 v5, 0x1000, v9
	v_med3_i32 v16, v16, 0, 13
	v_lshrrev_b32_e32 v17, 16, v6
	v_lshrrev_b32_e32 v19, 16, v0
	s_or_b32 vcc_lo, s0, vcc_lo
	v_add_co_ci_u32_e32 v1, vcc_lo, 0, v1, vcc_lo
	v_lshrrev_b32_e32 v6, v16, v5
	v_cmp_ne_u32_e32 vcc_lo, 0, v3
	v_mul_f16_sdwa v20, v36, v19 dst_sel:DWORD dst_unused:UNUSED_PAD src0_sel:WORD_1 src1_sel:DWORD
	v_and_or_b32 v11, 0x1ff, v12, v11
	v_and_or_b32 v13, 0x8000, v17, v13
	v_lshlrev_b32_e32 v16, v16, v6
	v_cndmask_b32_e64 v3, 0, 1, vcc_lo
	v_cmp_gt_i32_e32 vcc_lo, 31, v14
	v_fmac_f16_e32 v20, v36, v0
	v_and_b32_e32 v22, 0xffff, v13
	v_mul_f16_sdwa v0, v36, v0 dst_sel:DWORD dst_unused:UNUSED_PAD src0_sel:WORD_1 src1_sel:DWORD
	v_lshl_or_b32 v3, v3, 9, 0x7c00
	v_cndmask_b32_e32 v1, 0x7c00, v1, vcc_lo
	v_cmp_ne_u32_e32 vcc_lo, v16, v5
	v_add_nc_u32_e32 v16, 0xfffffc10, v18
	v_cvt_f32_f16_e32 v18, v20
	v_bfe_u32 v20, v12, 20, 11
	v_fma_f16 v0, v36, v19, -v0
	v_cndmask_b32_e64 v5, 0, 1, vcc_lo
	v_cmp_eq_u32_e32 vcc_lo, 0x40f, v14
	v_lshl_or_b32 v14, v16, 12, v9
	v_cvt_f32_f16_e32 v0, v0
	v_cndmask_b32_e32 v1, v1, v3, vcc_lo
	v_cmp_ne_u32_e32 vcc_lo, 0, v11
	v_or_b32_e32 v3, v6, v5
	v_cvt_f64_f32_e32 v[5:6], v18
	v_lshrrev_b32_e32 v18, 8, v12
	v_and_or_b32 v17, 0x8000, v4, v1
	v_cndmask_b32_e64 v11, 0, 1, vcc_lo
	v_cmp_gt_i32_e32 vcc_lo, 1, v16
	v_and_or_b32 v11, 0xffe, v18, v11
	v_cndmask_b32_e32 v14, v14, v3, vcc_lo
	v_sub_nc_u32_e32 v3, 0x3f1, v20
	v_or_b32_e32 v18, 0x1000, v11
	v_and_b32_e32 v1, 7, v14
	v_med3_i32 v21, v3, 0, 13
	v_mad_u64_u32 v[3:4], null, 0xfffff8c8, s8, v[7:8]
	v_cmp_lt_i32_e32 vcc_lo, 5, v1
	v_lshrrev_b32_e32 v13, v21, v18
	v_cmp_eq_u32_e64 s0, 3, v1
	v_lshrrev_b32_e32 v1, 2, v14
	v_mul_f64 v[5:6], v[5:6], s[6:7]
	v_add_nc_u32_e32 v4, s4, v4
	v_lshlrev_b32_e32 v14, v21, v13
	s_or_b32 vcc_lo, s0, vcc_lo
	v_add_co_ci_u32_e32 v1, vcc_lo, 0, v1, vcc_lo
	v_cmp_ne_u32_e32 vcc_lo, v14, v18
	v_add_nc_u32_e32 v18, 0xfffffc10, v20
	v_lshrrev_b32_e32 v20, 16, v2
	v_cndmask_b32_e64 v14, 0, 1, vcc_lo
	v_cmp_ne_u32_e32 vcc_lo, 0, v9
	v_or_b32_e32 v13, v13, v14
	v_cndmask_b32_e64 v9, 0, 1, vcc_lo
	v_cmp_gt_i32_e32 vcc_lo, 31, v16
	v_lshl_or_b32 v14, v18, 12, v11
	v_and_or_b32 v5, 0x1ff, v6, v5
	v_lshl_or_b32 v9, v9, 9, 0x7c00
	v_cndmask_b32_e32 v1, 0x7c00, v1, vcc_lo
	v_cmp_gt_i32_e32 vcc_lo, 1, v18
	v_bfe_u32 v19, v6, 20, 11
	v_cndmask_b32_e32 v13, v14, v13, vcc_lo
	v_cmp_eq_u32_e32 vcc_lo, 0x40f, v16
	v_lshrrev_b32_e32 v16, 8, v6
	v_lshrrev_b32_e32 v6, 16, v6
	v_and_b32_e32 v14, 7, v13
	v_cndmask_b32_e32 v9, v1, v9, vcc_lo
	v_cmp_ne_u32_e32 vcc_lo, 0, v5
	v_cvt_f64_f32_e32 v[0:1], v0
	v_lshrrev_b32_e32 v13, 2, v13
	v_cmp_eq_u32_e64 s0, 3, v14
	v_and_or_b32 v21, 0x8000, v10, v9
	v_cndmask_b32_e64 v5, 0, 1, vcc_lo
	v_sub_nc_u32_e32 v9, 0x3f1, v19
	v_mul_f16_sdwa v10, v35, v20 dst_sel:DWORD dst_unused:UNUSED_PAD src0_sel:WORD_1 src1_sel:DWORD
	v_cmp_lt_i32_e32 vcc_lo, 5, v14
	v_and_or_b32 v5, 0xffe, v16, v5
	v_med3_i32 v16, v9, 0, 13
	v_fmac_f16_e32 v10, v35, v2
	s_or_b32 vcc_lo, s0, vcc_lo
	v_mul_f16_sdwa v2, v35, v2 dst_sel:DWORD dst_unused:UNUSED_PAD src0_sel:WORD_1 src1_sel:DWORD
	v_or_b32_e32 v14, 0x1000, v5
	v_add_co_ci_u32_e32 v13, vcc_lo, 0, v13, vcc_lo
	v_cvt_f32_f16_e32 v9, v10
	v_cmp_ne_u32_e32 vcc_lo, 0, v11
	v_lshrrev_b32_e32 v23, v16, v14
	v_fma_f16 v2, v35, v20, -v2
	v_mul_f64 v[0:1], v[0:1], s[6:7]
	v_cndmask_b32_e64 v11, 0, 1, vcc_lo
	v_cvt_f64_f32_e32 v[9:10], v9
	v_lshlrev_b32_e32 v16, v16, v23
	v_cmp_gt_i32_e32 vcc_lo, 31, v18
	v_cvt_f32_f16_e32 v2, v2
	v_lshl_or_b32 v11, v11, 9, 0x7c00
	v_cndmask_b32_e32 v13, 0x7c00, v13, vcc_lo
	v_cmp_ne_u32_e32 vcc_lo, v16, v14
	v_add_nc_u32_e32 v16, 0xfffffc10, v19
	v_cndmask_b32_e64 v14, 0, 1, vcc_lo
	v_cmp_eq_u32_e32 vcc_lo, 0x40f, v18
	v_lshrrev_b32_e32 v18, 16, v12
	v_lshl_or_b32 v19, v16, 12, v5
	v_or_b32_e32 v14, v23, v14
	v_cndmask_b32_e32 v13, v13, v11, vcc_lo
	v_cvt_f64_f32_e32 v[11:12], v2
	v_cmp_gt_i32_e32 vcc_lo, 1, v16
	v_and_or_b32 v0, 0x1ff, v1, v0
	v_mul_f64 v[9:10], v[9:10], s[6:7]
	v_and_or_b32 v2, 0x8000, v18, v13
	v_and_b32_e32 v18, 0xffff, v21
	v_cndmask_b32_e32 v19, v19, v14, vcc_lo
	v_add_co_u32 v13, vcc_lo, v3, s3
	v_add_co_ci_u32_e32 v14, vcc_lo, s2, v4, vcc_lo
	v_and_b32_e32 v20, 7, v19
	v_cmp_ne_u32_e32 vcc_lo, 0, v0
	v_lshrrev_b32_e32 v19, 2, v19
	v_lshrrev_b32_e32 v21, 8, v1
	v_bfe_u32 v23, v1, 20, 11
	v_cmp_eq_u32_e64 s0, 3, v20
	v_cndmask_b32_e64 v0, 0, 1, vcc_lo
	v_cmp_lt_i32_e32 vcc_lo, 5, v20
	v_lshl_or_b32 v2, v2, 16, v18
	v_sub_nc_u32_e32 v20, 0x3f1, v23
	v_mul_f64 v[11:12], v[11:12], s[6:7]
	s_or_b32 vcc_lo, s0, vcc_lo
	v_and_or_b32 v0, 0xffe, v21, v0
	v_add_co_ci_u32_e32 v19, vcc_lo, 0, v19, vcc_lo
	v_cmp_ne_u32_e32 vcc_lo, 0, v5
	v_med3_i32 v20, v20, 0, 13
	v_or_b32_e32 v21, 0x1000, v0
	v_and_or_b32 v9, 0x1ff, v10, v9
	v_lshrrev_b32_e32 v25, 8, v10
	v_cndmask_b32_e64 v5, 0, 1, vcc_lo
	v_cmp_gt_i32_e32 vcc_lo, 31, v16
	v_lshrrev_b32_e32 v24, v20, v21
	v_bfe_u32 v26, v10, 20, 11
	v_lshl_or_b32 v5, v5, 9, 0x7c00
	v_cndmask_b32_e32 v19, 0x7c00, v19, vcc_lo
	v_cmp_ne_u32_e32 vcc_lo, 0, v9
	v_lshlrev_b32_e32 v20, v20, v24
	v_cndmask_b32_e64 v9, 0, 1, vcc_lo
	v_cmp_eq_u32_e32 vcc_lo, 0x40f, v16
	v_sub_nc_u32_e32 v16, 0x3f1, v26
	v_and_or_b32 v11, 0x1ff, v12, v11
	v_and_or_b32 v9, 0xffe, v25, v9
	v_cndmask_b32_e32 v5, v19, v5, vcc_lo
	v_cmp_ne_u32_e32 vcc_lo, v20, v21
	v_med3_i32 v16, v16, 0, 13
	v_add_nc_u32_e32 v20, 0xfffffc10, v23
	v_or_b32_e32 v21, 0x1000, v9
	v_lshrrev_b32_e32 v23, 8, v12
	v_cndmask_b32_e64 v19, 0, 1, vcc_lo
	v_cmp_ne_u32_e32 vcc_lo, 0, v11
	v_bfe_u32 v25, v12, 20, 11
	v_lshrrev_b32_e32 v27, v16, v21
	v_and_or_b32 v5, 0x8000, v6, v5
	v_or_b32_e32 v19, v24, v19
	v_cndmask_b32_e64 v11, 0, 1, vcc_lo
	v_lshl_or_b32 v24, v20, 12, v0
	v_cmp_gt_i32_e32 vcc_lo, 1, v20
	v_lshlrev_b32_e32 v16, v16, v27
	v_and_b32_e32 v5, 0xffff, v5
	v_and_or_b32 v11, 0xffe, v23, v11
	v_sub_nc_u32_e32 v23, 0x3f1, v25
	v_cndmask_b32_e32 v19, v24, v19, vcc_lo
	v_cmp_ne_u32_e32 vcc_lo, v16, v21
	v_add_nc_u32_e32 v21, 0xfffffc10, v26
	v_or_b32_e32 v24, 0x1000, v11
	v_med3_i32 v23, v23, 0, 13
	v_and_b32_e32 v28, 7, v19
	v_cndmask_b32_e64 v16, 0, 1, vcc_lo
	v_cmp_gt_i32_e64 s1, 1, v21
	v_lshrrev_b32_e32 v19, 2, v19
	v_lshrrev_b32_e32 v26, v23, v24
	v_cmp_lt_i32_e32 vcc_lo, 5, v28
	v_or_b32_e32 v6, v27, v16
	v_lshl_or_b32 v16, v21, 12, v9
	v_cmp_eq_u32_e64 s0, 3, v28
	v_lshlrev_b32_e32 v23, v23, v26
	v_cndmask_b32_e64 v6, v16, v6, s1
	s_or_b32 vcc_lo, s0, vcc_lo
	v_cmp_ne_u32_e64 s1, v23, v24
	v_add_nc_u32_e32 v23, 0xfffffc10, v25
	v_add_co_ci_u32_e32 v19, vcc_lo, 0, v19, vcc_lo
	v_and_b32_e32 v24, 7, v6
	v_cndmask_b32_e64 v16, 0, 1, s1
	v_cmp_ne_u32_e32 vcc_lo, 0, v0
	v_lshl_or_b32 v25, v23, 12, v11
	v_cmp_gt_i32_e64 s1, 1, v23
	v_cmp_eq_u32_e64 s0, 3, v24
	v_or_b32_e32 v16, v26, v16
	v_cndmask_b32_e64 v0, 0, 1, vcc_lo
	v_cmp_lt_i32_e32 vcc_lo, 5, v24
	v_lshrrev_b32_e32 v6, 2, v6
	v_cndmask_b32_e64 v16, v25, v16, s1
	v_cmp_gt_i32_e64 s1, 31, v20
	s_or_b32 vcc_lo, s0, vcc_lo
	v_lshl_or_b32 v0, v0, 9, 0x7c00
	v_add_co_ci_u32_e32 v6, vcc_lo, 0, v6, vcc_lo
	v_and_b32_e32 v24, 7, v16
	v_cmp_ne_u32_e32 vcc_lo, 0, v9
	v_lshrrev_b32_e32 v16, 2, v16
	v_cndmask_b32_e64 v19, 0x7c00, v19, s1
	v_cmp_gt_i32_e64 s1, 31, v21
	v_cmp_eq_u32_e64 s0, 3, v24
	v_cndmask_b32_e64 v9, 0, 1, vcc_lo
	v_cmp_lt_i32_e32 vcc_lo, 5, v24
	v_cndmask_b32_e64 v6, 0x7c00, v6, s1
	v_lshl_or_b32 v9, v9, 9, 0x7c00
	s_or_b32 vcc_lo, s0, vcc_lo
	v_add_co_ci_u32_e32 v16, vcc_lo, 0, v16, vcc_lo
	v_cmp_ne_u32_e32 vcc_lo, 0, v11
	v_cndmask_b32_e64 v11, 0, 1, vcc_lo
	v_cmp_eq_u32_e32 vcc_lo, 0x40f, v21
	v_lshl_or_b32 v11, v11, 9, 0x7c00
	v_cndmask_b32_e32 v6, v6, v9, vcc_lo
	v_cmp_gt_i32_e32 vcc_lo, 31, v23
	v_lshrrev_b32_e32 v9, 16, v10
	v_cndmask_b32_e32 v10, 0x7c00, v16, vcc_lo
	v_cmp_eq_u32_e32 vcc_lo, 0x40f, v20
	v_and_or_b32 v6, 0x8000, v9, v6
	v_cndmask_b32_e32 v16, v19, v0, vcc_lo
	v_cmp_eq_u32_e32 vcc_lo, 0x40f, v23
	v_lshrrev_b32_e32 v19, 16, v1
	v_mad_u64_u32 v[0:1], null, 0xfffff8c8, s8, v[13:14]
	v_and_b32_e32 v6, 0xffff, v6
	v_cndmask_b32_e32 v9, v10, v11, vcc_lo
	v_lshrrev_b32_e32 v10, 16, v12
	v_and_or_b32 v11, 0x8000, v19, v16
	v_add_nc_u32_e32 v1, s4, v1
	v_and_or_b32 v9, 0x8000, v10, v9
	v_lshl_or_b32 v10, v17, 16, v22
	v_lshl_or_b32 v11, v11, 16, v5
	v_add_co_u32 v5, vcc_lo, v0, s3
	v_lshl_or_b32 v9, v9, 16, v6
	v_add_co_ci_u32_e32 v6, vcc_lo, s2, v1, vcc_lo
	global_store_dword v[7:8], v15, off
	global_store_dword v[3:4], v10, off
	;; [unrolled: 1-line block ×5, first 2 shown]
.LBB0_18:
	s_endpgm
	.section	.rodata,"a",@progbits
	.p2align	6, 0x0
	.amdhsa_kernel bluestein_single_back_len1386_dim1_half_op_CI_CI
		.amdhsa_group_segment_fixed_size 5544
		.amdhsa_private_segment_fixed_size 0
		.amdhsa_kernarg_size 104
		.amdhsa_user_sgpr_count 6
		.amdhsa_user_sgpr_private_segment_buffer 1
		.amdhsa_user_sgpr_dispatch_ptr 0
		.amdhsa_user_sgpr_queue_ptr 0
		.amdhsa_user_sgpr_kernarg_segment_ptr 1
		.amdhsa_user_sgpr_dispatch_id 0
		.amdhsa_user_sgpr_flat_scratch_init 0
		.amdhsa_user_sgpr_private_segment_size 0
		.amdhsa_wavefront_size32 1
		.amdhsa_uses_dynamic_stack 0
		.amdhsa_system_sgpr_private_segment_wavefront_offset 0
		.amdhsa_system_sgpr_workgroup_id_x 1
		.amdhsa_system_sgpr_workgroup_id_y 0
		.amdhsa_system_sgpr_workgroup_id_z 0
		.amdhsa_system_sgpr_workgroup_info 0
		.amdhsa_system_vgpr_workitem_id 0
		.amdhsa_next_free_vgpr 170
		.amdhsa_next_free_sgpr 20
		.amdhsa_reserve_vcc 1
		.amdhsa_reserve_flat_scratch 0
		.amdhsa_float_round_mode_32 0
		.amdhsa_float_round_mode_16_64 0
		.amdhsa_float_denorm_mode_32 3
		.amdhsa_float_denorm_mode_16_64 3
		.amdhsa_dx10_clamp 1
		.amdhsa_ieee_mode 1
		.amdhsa_fp16_overflow 0
		.amdhsa_workgroup_processor_mode 1
		.amdhsa_memory_ordered 1
		.amdhsa_forward_progress 0
		.amdhsa_shared_vgpr_count 0
		.amdhsa_exception_fp_ieee_invalid_op 0
		.amdhsa_exception_fp_denorm_src 0
		.amdhsa_exception_fp_ieee_div_zero 0
		.amdhsa_exception_fp_ieee_overflow 0
		.amdhsa_exception_fp_ieee_underflow 0
		.amdhsa_exception_fp_ieee_inexact 0
		.amdhsa_exception_int_div_zero 0
	.end_amdhsa_kernel
	.text
.Lfunc_end0:
	.size	bluestein_single_back_len1386_dim1_half_op_CI_CI, .Lfunc_end0-bluestein_single_back_len1386_dim1_half_op_CI_CI
                                        ; -- End function
	.section	.AMDGPU.csdata,"",@progbits
; Kernel info:
; codeLenInByte = 14140
; NumSgprs: 22
; NumVgprs: 170
; ScratchSize: 0
; MemoryBound: 0
; FloatMode: 240
; IeeeMode: 1
; LDSByteSize: 5544 bytes/workgroup (compile time only)
; SGPRBlocks: 2
; VGPRBlocks: 21
; NumSGPRsForWavesPerEU: 22
; NumVGPRsForWavesPerEU: 170
; Occupancy: 5
; WaveLimiterHint : 1
; COMPUTE_PGM_RSRC2:SCRATCH_EN: 0
; COMPUTE_PGM_RSRC2:USER_SGPR: 6
; COMPUTE_PGM_RSRC2:TRAP_HANDLER: 0
; COMPUTE_PGM_RSRC2:TGID_X_EN: 1
; COMPUTE_PGM_RSRC2:TGID_Y_EN: 0
; COMPUTE_PGM_RSRC2:TGID_Z_EN: 0
; COMPUTE_PGM_RSRC2:TIDIG_COMP_CNT: 0
	.text
	.p2alignl 6, 3214868480
	.fill 48, 4, 3214868480
	.type	__hip_cuid_4b2b9ec88822ff09,@object ; @__hip_cuid_4b2b9ec88822ff09
	.section	.bss,"aw",@nobits
	.globl	__hip_cuid_4b2b9ec88822ff09
__hip_cuid_4b2b9ec88822ff09:
	.byte	0                               ; 0x0
	.size	__hip_cuid_4b2b9ec88822ff09, 1

	.ident	"AMD clang version 19.0.0git (https://github.com/RadeonOpenCompute/llvm-project roc-6.4.0 25133 c7fe45cf4b819c5991fe208aaa96edf142730f1d)"
	.section	".note.GNU-stack","",@progbits
	.addrsig
	.addrsig_sym __hip_cuid_4b2b9ec88822ff09
	.amdgpu_metadata
---
amdhsa.kernels:
  - .args:
      - .actual_access:  read_only
        .address_space:  global
        .offset:         0
        .size:           8
        .value_kind:     global_buffer
      - .actual_access:  read_only
        .address_space:  global
        .offset:         8
        .size:           8
        .value_kind:     global_buffer
      - .actual_access:  read_only
        .address_space:  global
        .offset:         16
        .size:           8
        .value_kind:     global_buffer
      - .actual_access:  read_only
        .address_space:  global
        .offset:         24
        .size:           8
        .value_kind:     global_buffer
      - .actual_access:  read_only
        .address_space:  global
        .offset:         32
        .size:           8
        .value_kind:     global_buffer
      - .offset:         40
        .size:           8
        .value_kind:     by_value
      - .address_space:  global
        .offset:         48
        .size:           8
        .value_kind:     global_buffer
      - .address_space:  global
        .offset:         56
        .size:           8
        .value_kind:     global_buffer
      - .address_space:  global
        .offset:         64
        .size:           8
        .value_kind:     global_buffer
      - .address_space:  global
        .offset:         72
        .size:           8
        .value_kind:     global_buffer
      - .offset:         80
        .size:           4
        .value_kind:     by_value
      - .address_space:  global
        .offset:         88
        .size:           8
        .value_kind:     global_buffer
      - .address_space:  global
        .offset:         96
        .size:           8
        .value_kind:     global_buffer
    .group_segment_fixed_size: 5544
    .kernarg_segment_align: 8
    .kernarg_segment_size: 104
    .language:       OpenCL C
    .language_version:
      - 2
      - 0
    .max_flat_workgroup_size: 231
    .name:           bluestein_single_back_len1386_dim1_half_op_CI_CI
    .private_segment_fixed_size: 0
    .sgpr_count:     22
    .sgpr_spill_count: 0
    .symbol:         bluestein_single_back_len1386_dim1_half_op_CI_CI.kd
    .uniform_work_group_size: 1
    .uses_dynamic_stack: false
    .vgpr_count:     170
    .vgpr_spill_count: 0
    .wavefront_size: 32
    .workgroup_processor_mode: 1
amdhsa.target:   amdgcn-amd-amdhsa--gfx1030
amdhsa.version:
  - 1
  - 2
...

	.end_amdgpu_metadata
